;; amdgpu-corpus repo=ROCm/rocFFT kind=compiled arch=gfx1030 opt=O3
	.text
	.amdgcn_target "amdgcn-amd-amdhsa--gfx1030"
	.amdhsa_code_object_version 6
	.protected	fft_rtc_back_len3645_factors_5_3_3_3_3_3_3_wgs_243_tpt_243_halfLds_dp_ip_CI_unitstride_sbrr_dirReg ; -- Begin function fft_rtc_back_len3645_factors_5_3_3_3_3_3_3_wgs_243_tpt_243_halfLds_dp_ip_CI_unitstride_sbrr_dirReg
	.globl	fft_rtc_back_len3645_factors_5_3_3_3_3_3_3_wgs_243_tpt_243_halfLds_dp_ip_CI_unitstride_sbrr_dirReg
	.p2align	8
	.type	fft_rtc_back_len3645_factors_5_3_3_3_3_3_3_wgs_243_tpt_243_halfLds_dp_ip_CI_unitstride_sbrr_dirReg,@function
fft_rtc_back_len3645_factors_5_3_3_3_3_3_3_wgs_243_tpt_243_halfLds_dp_ip_CI_unitstride_sbrr_dirReg: ; @fft_rtc_back_len3645_factors_5_3_3_3_3_3_3_wgs_243_tpt_243_halfLds_dp_ip_CI_unitstride_sbrr_dirReg
; %bb.0:
	s_clause 0x2
	s_load_dwordx4 s[8:11], s[4:5], 0x0
	s_load_dwordx2 s[2:3], s[4:5], 0x50
	s_load_dwordx2 s[12:13], s[4:5], 0x18
	v_mul_u32_u24_e32 v1, 0x10e, v0
	v_mov_b32_e32 v3, 0
	v_add_nc_u32_sdwa v5, s6, v1 dst_sel:DWORD dst_unused:UNUSED_PAD src0_sel:DWORD src1_sel:WORD_1
	v_mov_b32_e32 v1, 0
	v_mov_b32_e32 v6, v3
	v_mov_b32_e32 v2, 0
	s_waitcnt lgkmcnt(0)
	v_cmp_lt_u64_e64 s0, s[10:11], 2
	s_and_b32 vcc_lo, exec_lo, s0
	s_cbranch_vccnz .LBB0_8
; %bb.1:
	s_load_dwordx2 s[0:1], s[4:5], 0x10
	v_mov_b32_e32 v1, 0
	s_add_u32 s6, s12, 8
	v_mov_b32_e32 v2, 0
	s_addc_u32 s7, s13, 0
	s_mov_b64 s[16:17], 1
	s_waitcnt lgkmcnt(0)
	s_add_u32 s14, s0, 8
	s_addc_u32 s15, s1, 0
.LBB0_2:                                ; =>This Inner Loop Header: Depth=1
	s_load_dwordx2 s[18:19], s[14:15], 0x0
                                        ; implicit-def: $vgpr7_vgpr8
	s_mov_b32 s0, exec_lo
	s_waitcnt lgkmcnt(0)
	v_or_b32_e32 v4, s19, v6
	v_cmpx_ne_u64_e32 0, v[3:4]
	s_xor_b32 s1, exec_lo, s0
	s_cbranch_execz .LBB0_4
; %bb.3:                                ;   in Loop: Header=BB0_2 Depth=1
	v_cvt_f32_u32_e32 v4, s18
	v_cvt_f32_u32_e32 v7, s19
	s_sub_u32 s0, 0, s18
	s_subb_u32 s20, 0, s19
	v_fmac_f32_e32 v4, 0x4f800000, v7
	v_rcp_f32_e32 v4, v4
	v_mul_f32_e32 v4, 0x5f7ffffc, v4
	v_mul_f32_e32 v7, 0x2f800000, v4
	v_trunc_f32_e32 v7, v7
	v_fmac_f32_e32 v4, 0xcf800000, v7
	v_cvt_u32_f32_e32 v7, v7
	v_cvt_u32_f32_e32 v4, v4
	v_mul_lo_u32 v8, s0, v7
	v_mul_hi_u32 v9, s0, v4
	v_mul_lo_u32 v10, s20, v4
	v_add_nc_u32_e32 v8, v9, v8
	v_mul_lo_u32 v9, s0, v4
	v_add_nc_u32_e32 v8, v8, v10
	v_mul_hi_u32 v10, v4, v9
	v_mul_lo_u32 v11, v4, v8
	v_mul_hi_u32 v12, v4, v8
	v_mul_hi_u32 v13, v7, v9
	v_mul_lo_u32 v9, v7, v9
	v_mul_hi_u32 v14, v7, v8
	v_mul_lo_u32 v8, v7, v8
	v_add_co_u32 v10, vcc_lo, v10, v11
	v_add_co_ci_u32_e32 v11, vcc_lo, 0, v12, vcc_lo
	v_add_co_u32 v9, vcc_lo, v10, v9
	v_add_co_ci_u32_e32 v9, vcc_lo, v11, v13, vcc_lo
	v_add_co_ci_u32_e32 v10, vcc_lo, 0, v14, vcc_lo
	v_add_co_u32 v8, vcc_lo, v9, v8
	v_add_co_ci_u32_e32 v9, vcc_lo, 0, v10, vcc_lo
	v_add_co_u32 v4, vcc_lo, v4, v8
	v_add_co_ci_u32_e32 v7, vcc_lo, v7, v9, vcc_lo
	v_mul_hi_u32 v8, s0, v4
	v_mul_lo_u32 v10, s20, v4
	v_mul_lo_u32 v9, s0, v7
	v_add_nc_u32_e32 v8, v8, v9
	v_mul_lo_u32 v9, s0, v4
	v_add_nc_u32_e32 v8, v8, v10
	v_mul_hi_u32 v10, v4, v9
	v_mul_lo_u32 v11, v4, v8
	v_mul_hi_u32 v12, v4, v8
	v_mul_hi_u32 v13, v7, v9
	v_mul_lo_u32 v9, v7, v9
	v_mul_hi_u32 v14, v7, v8
	v_mul_lo_u32 v8, v7, v8
	v_add_co_u32 v10, vcc_lo, v10, v11
	v_add_co_ci_u32_e32 v11, vcc_lo, 0, v12, vcc_lo
	v_add_co_u32 v9, vcc_lo, v10, v9
	v_add_co_ci_u32_e32 v9, vcc_lo, v11, v13, vcc_lo
	v_add_co_ci_u32_e32 v10, vcc_lo, 0, v14, vcc_lo
	v_add_co_u32 v8, vcc_lo, v9, v8
	v_add_co_ci_u32_e32 v9, vcc_lo, 0, v10, vcc_lo
	v_add_co_u32 v4, vcc_lo, v4, v8
	v_add_co_ci_u32_e32 v11, vcc_lo, v7, v9, vcc_lo
	v_mul_hi_u32 v13, v5, v4
	v_mad_u64_u32 v[9:10], null, v6, v4, 0
	v_mad_u64_u32 v[7:8], null, v5, v11, 0
	;; [unrolled: 1-line block ×3, first 2 shown]
	v_add_co_u32 v4, vcc_lo, v13, v7
	v_add_co_ci_u32_e32 v7, vcc_lo, 0, v8, vcc_lo
	v_add_co_u32 v4, vcc_lo, v4, v9
	v_add_co_ci_u32_e32 v4, vcc_lo, v7, v10, vcc_lo
	v_add_co_ci_u32_e32 v7, vcc_lo, 0, v12, vcc_lo
	v_add_co_u32 v4, vcc_lo, v4, v11
	v_add_co_ci_u32_e32 v9, vcc_lo, 0, v7, vcc_lo
	v_mul_lo_u32 v10, s19, v4
	v_mad_u64_u32 v[7:8], null, s18, v4, 0
	v_mul_lo_u32 v11, s18, v9
	v_sub_co_u32 v7, vcc_lo, v5, v7
	v_add3_u32 v8, v8, v11, v10
	v_sub_nc_u32_e32 v10, v6, v8
	v_subrev_co_ci_u32_e64 v10, s0, s19, v10, vcc_lo
	v_add_co_u32 v11, s0, v4, 2
	v_add_co_ci_u32_e64 v12, s0, 0, v9, s0
	v_sub_co_u32 v13, s0, v7, s18
	v_sub_co_ci_u32_e32 v8, vcc_lo, v6, v8, vcc_lo
	v_subrev_co_ci_u32_e64 v10, s0, 0, v10, s0
	v_cmp_le_u32_e32 vcc_lo, s18, v13
	v_cmp_eq_u32_e64 s0, s19, v8
	v_cndmask_b32_e64 v13, 0, -1, vcc_lo
	v_cmp_le_u32_e32 vcc_lo, s19, v10
	v_cndmask_b32_e64 v14, 0, -1, vcc_lo
	v_cmp_le_u32_e32 vcc_lo, s18, v7
	;; [unrolled: 2-line block ×3, first 2 shown]
	v_cndmask_b32_e64 v15, 0, -1, vcc_lo
	v_cmp_eq_u32_e32 vcc_lo, s19, v10
	v_cndmask_b32_e64 v7, v15, v7, s0
	v_cndmask_b32_e32 v10, v14, v13, vcc_lo
	v_add_co_u32 v13, vcc_lo, v4, 1
	v_add_co_ci_u32_e32 v14, vcc_lo, 0, v9, vcc_lo
	v_cmp_ne_u32_e32 vcc_lo, 0, v10
	v_cndmask_b32_e32 v8, v14, v12, vcc_lo
	v_cndmask_b32_e32 v10, v13, v11, vcc_lo
	v_cmp_ne_u32_e32 vcc_lo, 0, v7
	v_cndmask_b32_e32 v8, v9, v8, vcc_lo
	v_cndmask_b32_e32 v7, v4, v10, vcc_lo
.LBB0_4:                                ;   in Loop: Header=BB0_2 Depth=1
	s_andn2_saveexec_b32 s0, s1
	s_cbranch_execz .LBB0_6
; %bb.5:                                ;   in Loop: Header=BB0_2 Depth=1
	v_cvt_f32_u32_e32 v4, s18
	s_sub_i32 s1, 0, s18
	v_rcp_iflag_f32_e32 v4, v4
	v_mul_f32_e32 v4, 0x4f7ffffe, v4
	v_cvt_u32_f32_e32 v4, v4
	v_mul_lo_u32 v7, s1, v4
	v_mul_hi_u32 v7, v4, v7
	v_add_nc_u32_e32 v4, v4, v7
	v_mul_hi_u32 v4, v5, v4
	v_mul_lo_u32 v7, v4, s18
	v_add_nc_u32_e32 v8, 1, v4
	v_sub_nc_u32_e32 v7, v5, v7
	v_subrev_nc_u32_e32 v9, s18, v7
	v_cmp_le_u32_e32 vcc_lo, s18, v7
	v_cndmask_b32_e32 v7, v7, v9, vcc_lo
	v_cndmask_b32_e32 v4, v4, v8, vcc_lo
	v_cmp_le_u32_e32 vcc_lo, s18, v7
	v_add_nc_u32_e32 v8, 1, v4
	v_cndmask_b32_e32 v7, v4, v8, vcc_lo
	v_mov_b32_e32 v8, v3
.LBB0_6:                                ;   in Loop: Header=BB0_2 Depth=1
	s_or_b32 exec_lo, exec_lo, s0
	s_load_dwordx2 s[0:1], s[6:7], 0x0
	v_mul_lo_u32 v4, v8, s18
	v_mul_lo_u32 v11, v7, s19
	v_mad_u64_u32 v[9:10], null, v7, s18, 0
	s_add_u32 s16, s16, 1
	s_addc_u32 s17, s17, 0
	s_add_u32 s6, s6, 8
	s_addc_u32 s7, s7, 0
	;; [unrolled: 2-line block ×3, first 2 shown]
	v_add3_u32 v4, v10, v11, v4
	v_sub_co_u32 v5, vcc_lo, v5, v9
	v_sub_co_ci_u32_e32 v4, vcc_lo, v6, v4, vcc_lo
	s_waitcnt lgkmcnt(0)
	v_mul_lo_u32 v6, s1, v5
	v_mul_lo_u32 v4, s0, v4
	v_mad_u64_u32 v[1:2], null, s0, v5, v[1:2]
	v_cmp_ge_u64_e64 s0, s[16:17], s[10:11]
	s_and_b32 vcc_lo, exec_lo, s0
	v_add3_u32 v2, v6, v2, v4
	s_cbranch_vccnz .LBB0_9
; %bb.7:                                ;   in Loop: Header=BB0_2 Depth=1
	v_mov_b32_e32 v5, v7
	v_mov_b32_e32 v6, v8
	s_branch .LBB0_2
.LBB0_8:
	v_mov_b32_e32 v8, v6
	v_mov_b32_e32 v7, v5
.LBB0_9:
	s_lshl_b64 s[0:1], s[10:11], 3
	v_mul_hi_u32 v5, 0x10db20b, v0
	s_add_u32 s0, s12, s0
	s_addc_u32 s1, s13, s1
                                        ; implicit-def: $vgpr10_vgpr11
                                        ; implicit-def: $vgpr14_vgpr15
                                        ; implicit-def: $vgpr18_vgpr19
                                        ; implicit-def: $vgpr38_vgpr39
                                        ; implicit-def: $vgpr42_vgpr43
                                        ; implicit-def: $vgpr54_vgpr55
                                        ; implicit-def: $vgpr58_vgpr59
                                        ; implicit-def: $vgpr50_vgpr51
                                        ; implicit-def: $vgpr46_vgpr47
                                        ; implicit-def: $vgpr26_vgpr27
                                        ; implicit-def: $vgpr30_vgpr31
                                        ; implicit-def: $vgpr34_vgpr35
                                        ; implicit-def: $vgpr22_vgpr23
	s_load_dwordx2 s[0:1], s[0:1], 0x0
	s_load_dwordx2 s[4:5], s[4:5], 0x20
	s_waitcnt lgkmcnt(0)
	v_mul_lo_u32 v3, s0, v8
	v_mul_lo_u32 v4, s1, v7
	v_mad_u64_u32 v[1:2], null, s0, v7, v[1:2]
	v_cmp_gt_u64_e32 vcc_lo, s[4:5], v[7:8]
                                        ; implicit-def: $vgpr6_vgpr7
	v_add3_u32 v2, v4, v2, v3
	v_mul_u32_u24_e32 v3, 0xf3, v5
	v_lshlrev_b64 v[62:63], 4, v[1:2]
	v_sub_nc_u32_e32 v60, v0, v3
                                        ; implicit-def: $vgpr2_vgpr3
	s_and_saveexec_b32 s1, vcc_lo
	s_cbranch_execz .LBB0_11
; %bb.10:
	v_mov_b32_e32 v61, 0
	v_add_co_u32 v2, s0, s2, v62
	v_add_co_ci_u32_e64 v3, s0, s3, v63, s0
	v_lshlrev_b64 v[0:1], 4, v[60:61]
	v_add_co_u32 v0, s0, v2, v0
	v_add_co_ci_u32_e64 v1, s0, v3, v1, s0
	v_add_co_u32 v2, s0, 0x2800, v0
	v_add_co_ci_u32_e64 v3, s0, 0, v1, s0
	v_add_co_u32 v4, s0, 0x5800, v0
	v_add_co_ci_u32_e64 v5, s0, 0, v1, s0
	v_add_co_u32 v6, s0, 0x8800, v0
	v_add_co_ci_u32_e64 v7, s0, 0, v1, s0
	s_clause 0x3
	global_load_dwordx4 v[20:23], v[0:1], off
	global_load_dwordx4 v[32:35], v[2:3], off offset:1424
	global_load_dwordx4 v[28:31], v[4:5], off offset:800
	;; [unrolled: 1-line block ×3, first 2 shown]
	v_add_co_u32 v2, s0, 0xb000, v0
	v_add_co_ci_u32_e64 v3, s0, 0, v1, s0
	v_add_co_u32 v4, s0, 0x800, v0
	v_add_co_ci_u32_e64 v5, s0, 0, v1, s0
	;; [unrolled: 2-line block ×6, first 2 shown]
	s_clause 0x5
	global_load_dwordx4 v[44:47], v[2:3], off offset:1600
	global_load_dwordx4 v[48:51], v[4:5], off offset:1840
	;; [unrolled: 1-line block ×6, first 2 shown]
	v_add_co_u32 v2, s0, 0x1800, v0
	v_add_co_ci_u32_e64 v3, s0, 0, v1, s0
	v_add_co_u32 v4, s0, 0x4800, v0
	v_add_co_ci_u32_e64 v5, s0, 0, v1, s0
	;; [unrolled: 2-line block ×5, first 2 shown]
	s_clause 0x4
	global_load_dwordx4 v[16:19], v[2:3], off offset:1632
	global_load_dwordx4 v[12:15], v[4:5], off offset:1008
	;; [unrolled: 1-line block ×5, first 2 shown]
.LBB0_11:
	s_or_b32 exec_lo, exec_lo, s1
	s_waitcnt vmcnt(13)
	v_add_f64 v[66:67], v[34:35], v[22:23]
	s_waitcnt vmcnt(11)
	v_add_f64 v[68:69], v[24:25], v[28:29]
	v_add_f64 v[64:65], v[32:33], v[20:21]
	s_waitcnt vmcnt(10)
	v_add_f64 v[70:71], v[44:45], v[32:33]
	v_add_f64 v[72:73], v[26:27], v[30:31]
	v_add_f64 v[76:77], v[34:35], -v[46:47]
	s_waitcnt vmcnt(8)
	v_add_f64 v[82:83], v[56:57], v[48:49]
	v_add_f64 v[74:75], v[46:47], v[34:35]
	;; [unrolled: 1-line block ×3, first 2 shown]
	v_add_f64 v[86:87], v[34:35], -v[30:31]
	v_add_f64 v[34:35], v[30:31], -v[34:35]
	s_mov_b32 s4, 0x134454ff
	s_mov_b32 s5, 0xbfee6f0e
	;; [unrolled: 1-line block ×4, first 2 shown]
	v_add_f64 v[78:79], v[32:33], -v[28:29]
	v_add_f64 v[80:81], v[28:29], -v[32:33]
	;; [unrolled: 1-line block ×6, first 2 shown]
	s_waitcnt vmcnt(6)
	v_add_f64 v[96:97], v[40:41], v[52:53]
	v_add_f64 v[66:67], v[30:31], v[66:67]
	v_fma_f64 v[68:69], v[68:69], -0.5, v[20:21]
	v_add_f64 v[64:65], v[28:29], v[64:65]
	v_add_f64 v[30:31], v[30:31], -v[26:27]
	v_fma_f64 v[20:21], v[70:71], -0.5, v[20:21]
	s_waitcnt vmcnt(5)
	v_add_f64 v[98:99], v[36:37], v[56:57]
	v_add_f64 v[100:101], v[42:43], v[54:55]
	;; [unrolled: 1-line block ×4, first 2 shown]
	v_add_f64 v[28:29], v[28:29], -v[24:25]
	v_add_f64 v[90:91], v[24:25], -v[44:45]
	v_add_f64 v[84:85], v[54:55], v[84:85]
	s_mov_b32 s6, 0x4755a5e
	s_mov_b32 s7, 0xbfe2cf23
	;; [unrolled: 1-line block ×4, first 2 shown]
	v_add_f64 v[104:105], v[58:59], -v[38:39]
	v_add_f64 v[70:71], v[56:57], -v[52:53]
	v_add_f64 v[78:79], v[88:89], v[78:79]
	v_add_f64 v[106:107], v[52:53], -v[56:57]
	v_add_f64 v[56:57], v[56:57], -v[36:37]
	v_fma_f64 v[96:97], v[96:97], -0.5, v[48:49]
	v_add_f64 v[26:27], v[26:27], v[66:67]
	v_fma_f64 v[66:67], v[72:73], -0.5, v[22:23]
	v_fma_f64 v[72:73], v[76:77], s[4:5], v[68:69]
	v_fma_f64 v[68:69], v[76:77], s[0:1], v[68:69]
	v_add_f64 v[24:25], v[24:25], v[64:65]
	v_fma_f64 v[22:23], v[74:75], -0.5, v[22:23]
	v_fma_f64 v[108:109], v[30:31], s[0:1], v[20:21]
	v_fma_f64 v[20:21], v[30:31], s[4:5], v[20:21]
	v_fma_f64 v[48:49], v[98:99], -0.5, v[48:49]
	v_add_f64 v[82:83], v[40:41], v[82:83]
	v_fma_f64 v[98:99], v[100:101], -0.5, v[50:51]
	v_fma_f64 v[50:51], v[102:103], -0.5, v[50:51]
	v_add_f64 v[74:75], v[36:37], -v[40:41]
	v_add_f64 v[84:85], v[42:43], v[84:85]
	s_mov_b32 s12, 0x372fe950
	s_mov_b32 s13, 0x3fd3c6ef
	v_add_f64 v[52:53], v[52:53], -v[40:41]
	v_add_f64 v[40:41], v[40:41], -v[36:37]
	;; [unrolled: 1-line block ×6, first 2 shown]
	v_add_f64 v[102:103], v[46:47], v[26:27]
	v_fma_f64 v[88:89], v[32:33], s[0:1], v[66:67]
	v_fma_f64 v[26:27], v[30:31], s[6:7], v[72:73]
	;; [unrolled: 1-line block ×3, first 2 shown]
	v_add_f64 v[24:25], v[44:45], v[24:25]
	v_add_f64 v[44:45], v[90:91], v[80:81]
	v_fma_f64 v[46:47], v[76:77], s[6:7], v[108:109]
	v_fma_f64 v[20:21], v[76:77], s[10:11], v[20:21]
	;; [unrolled: 1-line block ×4, first 2 shown]
	s_waitcnt vmcnt(1)
	v_add_f64 v[76:77], v[4:5], v[8:9]
	s_waitcnt vmcnt(0)
	v_add_f64 v[80:81], v[0:1], v[12:13]
	v_add_f64 v[36:37], v[36:37], v[82:83]
	v_fma_f64 v[66:67], v[32:33], s[4:5], v[66:67]
	v_add_f64 v[42:43], v[42:43], -v[38:39]
	v_add_f64 v[72:73], v[38:39], v[84:85]
	v_add_f64 v[38:39], v[92:93], v[86:87]
	v_fma_f64 v[84:85], v[104:105], s[4:5], v[96:97]
	v_fma_f64 v[86:87], v[104:105], s[0:1], v[96:97]
	;; [unrolled: 1-line block ×3, first 2 shown]
	v_add_f64 v[34:35], v[94:95], v[34:35]
	v_add_f64 v[92:93], v[14:15], v[18:19]
	v_add_f64 v[94:95], v[12:13], -v[0:1]
	v_fma_f64 v[82:83], v[28:29], s[10:11], v[88:89]
	v_add_f64 v[88:89], v[6:7], v[10:11]
	v_fma_f64 v[26:27], v[78:79], s[12:13], v[26:27]
	v_fma_f64 v[30:31], v[78:79], s[12:13], v[30:31]
	v_add_f64 v[78:79], v[2:3], v[14:15]
	v_fma_f64 v[46:47], v[44:45], s[12:13], v[46:47]
	v_fma_f64 v[20:21], v[44:45], s[12:13], v[20:21]
	;; [unrolled: 1-line block ×5, first 2 shown]
	v_add_f64 v[32:33], v[74:75], v[70:71]
	v_fma_f64 v[70:71], v[76:77], -0.5, v[16:17]
	v_add_f64 v[74:75], v[14:15], -v[2:3]
	v_fma_f64 v[76:77], v[80:81], -0.5, v[16:17]
	v_add_f64 v[16:17], v[12:13], v[16:17]
	v_add_f64 v[80:81], v[10:11], -v[6:7]
	v_fma_f64 v[28:29], v[28:29], s[6:7], v[66:67]
	v_fma_f64 v[66:67], v[54:55], s[0:1], v[48:49]
	v_fma_f64 v[48:49], v[54:55], s[4:5], v[48:49]
	v_fma_f64 v[84:85], v[54:55], s[6:7], v[84:85]
	v_fma_f64 v[54:55], v[54:55], s[10:11], v[86:87]
	v_fma_f64 v[86:87], v[52:53], s[4:5], v[50:51]
	v_fma_f64 v[50:51], v[52:53], s[0:1], v[50:51]
	v_fma_f64 v[88:89], v[88:89], -0.5, v[18:19]
	v_add_f64 v[42:43], v[42:43], v[58:59]
	v_add_f64 v[58:59], v[12:13], -v[8:9]
	v_fma_f64 v[18:19], v[78:79], -0.5, v[18:19]
	v_add_f64 v[78:79], v[8:9], -v[4:5]
	v_add_f64 v[12:13], v[8:9], -v[12:13]
	v_add_f64 v[40:41], v[40:41], v[106:107]
	v_fma_f64 v[68:69], v[52:53], s[10:11], v[68:69]
	v_fma_f64 v[52:53], v[52:53], s[6:7], v[90:91]
	v_add_f64 v[90:91], v[0:1], -v[4:5]
	v_add_f64 v[64:65], v[100:101], v[64:65]
	v_fma_f64 v[96:97], v[74:75], s[4:5], v[70:71]
	v_fma_f64 v[70:71], v[74:75], s[0:1], v[70:71]
	v_add_f64 v[8:9], v[8:9], v[16:17]
	v_fma_f64 v[98:99], v[80:81], s[0:1], v[76:77]
	v_fma_f64 v[76:77], v[80:81], s[4:5], v[76:77]
	v_add_f64 v[16:17], v[4:5], -v[0:1]
	v_add_f64 v[100:101], v[14:15], -v[10:11]
	;; [unrolled: 1-line block ×3, first 2 shown]
	v_add_f64 v[10:11], v[10:11], v[92:93]
	v_add_f64 v[106:107], v[6:7], -v[2:3]
	v_fma_f64 v[66:67], v[104:105], s[6:7], v[66:67]
	v_fma_f64 v[92:93], v[94:95], s[0:1], v[88:89]
	;; [unrolled: 1-line block ×4, first 2 shown]
	v_add_f64 v[104:105], v[2:3], -v[6:7]
	v_fma_f64 v[108:109], v[78:79], s[4:5], v[18:19]
	v_fma_f64 v[18:19], v[78:79], s[0:1], v[18:19]
	v_fma_f64 v[86:87], v[56:57], s[10:11], v[86:87]
	v_fma_f64 v[50:51], v[56:57], s[6:7], v[50:51]
	s_mov_b32 s4, 0xe8584caa
	v_add_f64 v[56:57], v[90:91], v[58:59]
	v_fma_f64 v[90:91], v[34:35], s[12:13], v[22:23]
	v_fma_f64 v[58:59], v[80:81], s[6:7], v[96:97]
	;; [unrolled: 1-line block ×3, first 2 shown]
	v_add_f64 v[4:5], v[4:5], v[8:9]
	v_fma_f64 v[80:81], v[38:39], s[12:13], v[82:83]
	v_fma_f64 v[82:83], v[38:39], s[12:13], v[28:29]
	v_add_f64 v[8:9], v[16:17], v[12:13]
	v_fma_f64 v[12:13], v[74:75], s[6:7], v[98:99]
	v_fma_f64 v[16:17], v[74:75], s[10:11], v[76:77]
	v_add_f64 v[6:7], v[6:7], v[10:11]
	v_add_f64 v[14:15], v[106:107], v[14:15]
	v_fma_f64 v[22:23], v[32:33], s[12:13], v[84:85]
	v_fma_f64 v[10:11], v[78:79], s[10:11], v[92:93]
	;; [unrolled: 1-line block ×4, first 2 shown]
	v_add_f64 v[74:75], v[104:105], v[100:101]
	v_fma_f64 v[78:79], v[94:95], s[10:11], v[108:109]
	v_fma_f64 v[18:19], v[94:95], s[6:7], v[18:19]
	;; [unrolled: 1-line block ×7, first 2 shown]
	v_mad_u32_u24 v51, v60, 40, 0
	v_fma_f64 v[39:40], v[64:65], s[12:13], v[68:69]
	v_add_f64 v[0:1], v[0:1], v[4:5]
	v_fma_f64 v[4:5], v[56:57], s[12:13], v[58:59]
	v_fma_f64 v[52:53], v[64:65], s[12:13], v[52:53]
	ds_write2_b64 v51, v[24:25], v[26:27] offset1:1
	v_fma_f64 v[12:13], v[8:9], s[12:13], v[12:13]
	v_fma_f64 v[8:9], v[8:9], s[12:13], v[16:17]
	v_fma_f64 v[16:17], v[56:57], s[12:13], v[70:71]
	ds_write2_b64 v51, v[46:47], v[20:21] offset0:2 offset1:3
	ds_write_b64 v51, v[30:31] offset:32
	v_add_nc_u32_e32 v20, 0x2608, v51
	v_add_nc_u32_e32 v21, 0x4bf0, v51
	;; [unrolled: 1-line block ×3, first 2 shown]
	v_add_f64 v[56:57], v[2:3], v[6:7]
	v_fma_f64 v[58:59], v[74:75], s[12:13], v[10:11]
	v_fma_f64 v[66:67], v[14:15], s[12:13], v[78:79]
	;; [unrolled: 1-line block ×3, first 2 shown]
	v_add_nc_u32_e32 v19, 0x25f8, v51
	v_and_b32_e32 v18, 0xff, v60
	ds_write2_b64 v20, v[32:33], v[34:35] offset1:1
	v_lshlrev_b32_e32 v2, 5, v60
	v_fma_f64 v[64:65], v[74:75], s[12:13], v[76:77]
	ds_write2_b64 v19, v[36:37], v[22:23] offset1:1
	ds_write_b64 v51, v[28:29] offset:9752
	ds_write2_b64 v21, v[0:1], v[4:5] offset1:1
	ds_write2_b64 v31, v[12:13], v[8:9] offset1:1
	ds_write_b64 v51, v[16:17] offset:19472
	v_mul_lo_u16 v12, 0xcd, v18
	v_sub_nc_u32_e32 v32, v51, v2
	v_mov_b32_e32 v26, 5
	s_waitcnt lgkmcnt(0)
	s_barrier
	v_lshrrev_b16 v17, 10, v12
	v_add_nc_u32_e32 v35, 0x4bc0, v32
	v_add_nc_u32_e32 v33, 0x2d80, v32
	;; [unrolled: 1-line block ×4, first 2 shown]
	v_mul_lo_u16 v12, v17, 5
	v_add_nc_u32_e32 v37, 0x5b00, v32
	v_add_nc_u32_e32 v38, 0x3c80, v32
	buffer_gl0_inv
	ds_read2_b64 v[4:7], v32 offset1:243
	ds_read2_b64 v[0:3], v34 offset0:12 offset1:255
	v_sub_nc_u16 v16, v60, v12
	ds_read2_b64 v[22:25], v35 offset0:6 offset1:249
	ds_read2_b64 v[27:30], v33 offset0:2 offset1:245
	;; [unrolled: 1-line block ×5, first 2 shown]
	ds_read_b64 v[100:101], v32 offset:27216
	s_waitcnt lgkmcnt(0)
	s_barrier
	buffer_gl0_inv
	ds_write2_b64 v51, v[102:103], v[80:81] offset1:1
	ds_write2_b64 v51, v[88:89], v[90:91] offset0:2 offset1:3
	ds_write_b64 v51, v[82:83] offset:32
	ds_write2_b64 v19, v[72:73], v[39:40] offset1:1
	v_add_nc_u32_e32 v40, 0xf3, v60
	v_mov_b32_e32 v19, 0xcccd
	ds_write2_b64 v20, v[54:55], v[41:42] offset1:1
	ds_write_b64 v51, v[52:53] offset:9752
	ds_write2_b64 v21, v[56:57], v[58:59] offset1:1
	ds_write2_b64 v31, v[66:67], v[14:15] offset1:1
	v_lshlrev_b32_sdwa v31, v26, v16 dst_sel:DWORD dst_unused:UNUSED_PAD src0_sel:DWORD src1_sel:BYTE_0
	ds_write_b64 v51, v[64:65] offset:19472
	v_mul_u32_u24_sdwa v12, v40, v19 dst_sel:DWORD dst_unused:UNUSED_PAD src0_sel:WORD_0 src1_sel:DWORD
	s_waitcnt lgkmcnt(0)
	s_barrier
	buffer_gl0_inv
	s_clause 0x1
	global_load_dwordx4 v[51:54], v31, s[8:9] offset:16
	global_load_dwordx4 v[80:83], v31, s[8:9]
	v_lshrrev_b32_e32 v12, 18, v12
	v_add_nc_u32_e32 v41, 0x1e6, v60
	v_add_nc_u32_e32 v42, 0x2d9, v60
	s_mov_b32 s5, 0xbfebb67a
	s_mov_b32 s7, 0x3febb67a
	v_mul_lo_u16 v13, v12, 5
	v_mul_u32_u24_sdwa v14, v41, v19 dst_sel:DWORD dst_unused:UNUSED_PAD src0_sel:WORD_0 src1_sel:DWORD
	s_mov_b32 s6, s4
	v_mov_b32_e32 v109, 0x8889
	v_cmp_gt_u32_e64 s0, 0x87, v60
	v_sub_nc_u16 v13, v40, v13
	v_lshrrev_b32_e32 v14, 18, v14
	v_mul_u32_u24_sdwa v110, v40, v109 dst_sel:DWORD dst_unused:UNUSED_PAD src0_sel:WORD_0 src1_sel:DWORD
	v_lshlrev_b32_sdwa v20, v26, v13 dst_sel:DWORD dst_unused:UNUSED_PAD src0_sel:DWORD src1_sel:WORD_0
	v_mul_lo_u16 v15, v14, 5
	s_clause 0x1
	global_load_dwordx4 v[55:58], v20, s[8:9] offset:16
	global_load_dwordx4 v[64:67], v20, s[8:9]
	v_sub_nc_u16 v15, v41, v15
	v_mul_u32_u24_sdwa v20, v42, v19 dst_sel:DWORD dst_unused:UNUSED_PAD src0_sel:WORD_0 src1_sel:DWORD
	v_lshlrev_b32_sdwa v39, v26, v15 dst_sel:DWORD dst_unused:UNUSED_PAD src0_sel:DWORD src1_sel:WORD_0
	v_lshrrev_b32_e32 v20, 18, v20
	s_clause 0x1
	global_load_dwordx4 v[68:71], v39, s[8:9]
	global_load_dwordx4 v[72:75], v39, s[8:9] offset:16
	v_mul_lo_u16 v21, v20, 5
	v_add_nc_u32_e32 v39, 0x3cc, v60
	v_sub_nc_u16 v21, v42, v21
	v_mul_u32_u24_sdwa v19, v39, v19 dst_sel:DWORD dst_unused:UNUSED_PAD src0_sel:WORD_0 src1_sel:DWORD
	v_lshlrev_b32_sdwa v59, v26, v21 dst_sel:DWORD dst_unused:UNUSED_PAD src0_sel:DWORD src1_sel:WORD_0
	v_lshrrev_b32_e32 v61, 18, v19
	s_clause 0x1
	global_load_dwordx4 v[76:79], v59, s[8:9] offset:16
	global_load_dwordx4 v[84:87], v59, s[8:9]
	v_mul_lo_u16 v19, v61, 5
	v_mul_u32_u24_e32 v61, 0x78, v61
	v_sub_nc_u16 v59, v39, v19
	v_lshlrev_b32_sdwa v19, v26, v59 dst_sel:DWORD dst_unused:UNUSED_PAD src0_sel:DWORD src1_sel:WORD_0
	s_clause 0x1
	global_load_dwordx4 v[88:91], v19, s[8:9]
	global_load_dwordx4 v[92:95], v19, s[8:9] offset:16
	ds_read2_b64 v[96:99], v35 offset0:6 offset1:249
	v_mov_b32_e32 v19, 0x78
	v_mul_u32_u24_sdwa v17, v17, v19 dst_sel:DWORD dst_unused:UNUSED_PAD src0_sel:WORD_0 src1_sel:DWORD
	s_waitcnt vmcnt(9) lgkmcnt(0)
	v_mul_f64 v[102:103], v[96:97], v[53:54]
	v_mul_f64 v[53:54], v[22:23], v[53:54]
	s_waitcnt vmcnt(7)
	v_mul_f64 v[104:105], v[98:99], v[57:58]
	v_fma_f64 v[102:103], v[22:23], v[51:52], v[102:103]
	v_mul_f64 v[22:23], v[24:25], v[57:58]
	v_fma_f64 v[96:97], v[96:97], v[51:52], -v[53:54]
	ds_read2_b64 v[51:54], v33 offset0:2 offset1:245
	v_fma_f64 v[57:58], v[24:25], v[55:56], v[104:105]
	s_waitcnt vmcnt(6) lgkmcnt(0)
	v_mul_f64 v[104:105], v[51:52], v[66:67]
	v_mul_f64 v[66:67], v[27:28], v[66:67]
	v_fma_f64 v[55:56], v[98:99], v[55:56], -v[22:23]
	s_waitcnt vmcnt(5)
	v_mul_f64 v[98:99], v[53:54], v[70:71]
	v_mul_f64 v[70:71], v[29:30], v[70:71]
	ds_read2_b64 v[22:25], v37 offset0:4 offset1:247
	v_fma_f64 v[104:105], v[27:28], v[64:65], v[104:105]
	v_fma_f64 v[64:65], v[51:52], v[64:65], -v[66:67]
	v_mov_b32_e32 v27, 3
	s_waitcnt vmcnt(4) lgkmcnt(0)
	v_mul_f64 v[66:67], v[22:23], v[74:75]
	v_mul_f64 v[74:75], v[43:44], v[74:75]
	v_fma_f64 v[98:99], v[29:30], v[68:69], v[98:99]
	v_fma_f64 v[68:69], v[53:54], v[68:69], -v[70:71]
	s_waitcnt vmcnt(3)
	v_mul_f64 v[70:71], v[24:25], v[78:79]
	v_mul_f64 v[78:79], v[45:46], v[78:79]
	ds_read2_b64 v[28:31], v34 offset0:12 offset1:255
	ds_read2_b64 v[51:54], v38 offset0:8 offset1:251
	v_lshlrev_b32_sdwa v16, v27, v16 dst_sel:DWORD dst_unused:UNUSED_PAD src0_sel:DWORD src1_sel:BYTE_0
	v_lshlrev_b32_sdwa v108, v27, v15 dst_sel:DWORD dst_unused:UNUSED_PAD src0_sel:DWORD src1_sel:WORD_0
	v_lshlrev_b32_sdwa v107, v27, v13 dst_sel:DWORD dst_unused:UNUSED_PAD src0_sel:DWORD src1_sel:WORD_0
	;; [unrolled: 1-line block ×4, first 2 shown]
	v_add3_u32 v106, 0, v17, v16
	v_mul_u32_u24_e32 v17, 0x78, v14
	v_mul_lo_u16 v16, 0x89, v18
	v_mul_lo_u16 v18, 0x6d, v18
	v_add3_u32 v59, 0, v61, v59
	v_add3_u32 v108, 0, v17, v108
	v_lshrrev_b16 v19, 11, v16
	v_mul_u32_u24_e32 v16, 0x78, v12
	v_fma_f64 v[66:67], v[43:44], v[72:73], v[66:67]
	v_fma_f64 v[72:73], v[22:23], v[72:73], -v[74:75]
	v_mul_f64 v[43:44], v[2:3], v[82:83]
	ds_read_b64 v[74:75], v32 offset:27216
	s_waitcnt lgkmcnt(2)
	v_mul_f64 v[22:23], v[30:31], v[82:83]
	v_fma_f64 v[70:71], v[45:46], v[76:77], v[70:71]
	s_waitcnt vmcnt(2) lgkmcnt(1)
	v_mul_f64 v[45:46], v[51:52], v[86:87]
	v_fma_f64 v[76:77], v[24:25], v[76:77], -v[78:79]
	v_mul_f64 v[24:25], v[47:48], v[86:87]
	s_waitcnt vmcnt(1)
	v_mul_f64 v[78:79], v[53:54], v[90:91]
	v_mul_f64 v[82:83], v[49:50], v[90:91]
	v_add_f64 v[86:87], v[64:65], v[55:56]
	v_add3_u32 v107, 0, v16, v107
	v_mul_lo_u16 v16, v19, 15
	v_mul_u32_u24_e32 v17, 0x78, v20
	v_sub_nc_u16 v20, v60, v16
	v_add3_u32 v21, 0, v17, v21
	v_add_f64 v[90:91], v[98:99], v[66:67]
	v_lshlrev_b32_sdwa v61, v26, v20 dst_sel:DWORD dst_unused:UNUSED_PAD src0_sel:DWORD src1_sel:BYTE_0
	v_fma_f64 v[30:31], v[30:31], v[80:81], -v[43:44]
	s_waitcnt vmcnt(0) lgkmcnt(0)
	v_mul_f64 v[43:44], v[74:75], v[94:95]
	v_fma_f64 v[2:3], v[2:3], v[80:81], v[22:23]
	v_mul_f64 v[80:81], v[100:101], v[94:95]
	v_fma_f64 v[47:48], v[47:48], v[84:85], v[45:46]
	v_fma_f64 v[51:52], v[51:52], v[84:85], -v[24:25]
	v_fma_f64 v[49:50], v[49:50], v[88:89], v[78:79]
	v_add_f64 v[84:85], v[104:105], v[57:58]
	v_fma_f64 v[53:54], v[53:54], v[88:89], -v[82:83]
	ds_read2_b64 v[22:25], v32 offset1:243
	v_add_f64 v[82:83], v[30:31], v[96:97]
	v_fma_f64 v[88:89], v[100:101], v[92:93], v[43:44]
	v_add_f64 v[78:79], v[2:3], v[102:103]
	v_fma_f64 v[74:75], v[74:75], v[92:93], -v[80:81]
	v_add_f64 v[94:95], v[47:48], v[70:71]
	v_add_f64 v[80:81], v[68:69], v[72:73]
	;; [unrolled: 1-line block ×3, first 2 shown]
	ds_read2_b64 v[43:46], v36 offset0:6 offset1:249
	v_add_f64 v[100:101], v[4:5], v[2:3]
	v_add_f64 v[16:17], v[30:31], -v[96:97]
	v_add_f64 v[2:3], v[2:3], -v[102:103]
	s_waitcnt lgkmcnt(0)
	s_barrier
	buffer_gl0_inv
	v_fma_f64 v[4:5], v[78:79], -0.5, v[4:5]
	v_fma_f64 v[78:79], v[84:85], -0.5, v[6:7]
	v_add_f64 v[84:85], v[22:23], v[30:31]
	v_fma_f64 v[22:23], v[82:83], -0.5, v[22:23]
	v_fma_f64 v[82:83], v[86:87], -0.5, v[24:25]
	v_add_f64 v[86:87], v[8:9], v[98:99]
	;; [unrolled: 3-line block ×4, first 2 shown]
	v_add_f64 v[14:15], v[53:54], v[74:75]
	v_add_f64 v[6:7], v[6:7], v[104:105]
	;; [unrolled: 1-line block ×4, first 2 shown]
	v_add_f64 v[30:31], v[64:65], -v[55:56]
	v_add_f64 v[64:65], v[68:69], -v[72:73]
	;; [unrolled: 1-line block ×3, first 2 shown]
	v_add_f64 v[10:11], v[10:11], v[47:48]
	v_add_f64 v[51:52], v[51:52], -v[76:77]
	v_add_f64 v[47:48], v[47:48], -v[70:71]
	v_lshrrev_b16 v105, 8, v18
	v_mov_b32_e32 v18, 0x168
	v_fma_f64 v[12:13], v[92:93], -0.5, v[0:1]
	v_fma_f64 v[14:15], v[14:15], -0.5, v[28:29]
	v_add_f64 v[28:29], v[28:29], v[53:54]
	v_add_f64 v[53:54], v[53:54], -v[74:75]
	v_add_f64 v[92:93], v[98:99], -v[66:67]
	v_add_f64 v[0:1], v[0:1], v[49:50]
	v_add_f64 v[49:50], v[49:50], -v[88:89]
	v_add_f64 v[98:99], v[100:101], v[102:103]
	v_add_f64 v[6:7], v[6:7], v[57:58]
	v_add_f64 v[57:58], v[86:87], v[66:67]
	v_add_f64 v[66:67], v[84:85], v[96:97]
	v_add_f64 v[55:56], v[24:25], v[55:56]
	v_fma_f64 v[24:25], v[16:17], s[4:5], v[4:5]
	v_fma_f64 v[4:5], v[16:17], s[6:7], v[4:5]
	;; [unrolled: 1-line block ×7, first 2 shown]
	v_add_f64 v[10:11], v[10:11], v[70:71]
	v_add_f64 v[70:71], v[94:95], v[72:73]
	v_fma_f64 v[72:73], v[64:65], s[4:5], v[8:9]
	v_fma_f64 v[8:9], v[64:65], s[6:7], v[8:9]
	;; [unrolled: 1-line block ×6, first 2 shown]
	v_add_f64 v[53:54], v[45:46], v[76:77]
	v_fma_f64 v[76:77], v[2:3], s[6:7], v[22:23]
	v_fma_f64 v[82:83], v[92:93], s[6:7], v[43:44]
	v_add_f64 v[0:1], v[0:1], v[88:89]
	v_fma_f64 v[88:89], v[92:93], s[4:5], v[43:44]
	v_fma_f64 v[90:91], v[47:48], s[6:7], v[80:81]
	;; [unrolled: 1-line block ×3, first 2 shown]
	v_add_f64 v[74:75], v[28:29], v[74:75]
	v_fma_f64 v[80:81], v[49:50], s[6:7], v[14:15]
	v_fma_f64 v[49:50], v[49:50], s[4:5], v[14:15]
	ds_write2_b64 v106, v[98:99], v[24:25] offset1:5
	ds_write_b64 v106, v[4:5] offset:80
	ds_write2_b64 v107, v[6:7], v[16:17] offset1:5
	ds_write_b64 v107, v[30:31] offset:80
	ds_write2_b64 v108, v[57:58], v[72:73] offset1:5
	ds_write_b64 v108, v[8:9] offset:80
	ds_write2_b64 v21, v[10:11], v[64:65] offset1:5
	ds_write_b64 v21, v[51:52] offset:80
	ds_write2_b64 v59, v[0:1], v[78:79] offset1:5
	ds_write_b64 v59, v[12:13] offset:80
	s_waitcnt lgkmcnt(0)
	s_barrier
	buffer_gl0_inv
	ds_read2_b64 v[8:11], v32 offset1:243
	ds_read2_b64 v[0:3], v34 offset0:12 offset1:255
	ds_read_b64 v[16:17], v32 offset:27216
	ds_read2_b64 v[22:25], v35 offset0:6 offset1:249
	ds_read2_b64 v[28:31], v33 offset0:2 offset1:245
	;; [unrolled: 1-line block ×5, first 2 shown]
	s_waitcnt lgkmcnt(0)
	s_barrier
	buffer_gl0_inv
	ds_write2_b64 v106, v[66:67], v[76:77] offset1:5
	ds_write_b64 v106, v[84:85] offset:80
	ds_write2_b64 v107, v[55:56], v[86:87] offset1:5
	ds_write_b64 v107, v[68:69] offset:80
	ds_write2_b64 v108, v[70:71], v[82:83] offset1:5
	ds_write_b64 v108, v[88:89] offset:80
	ds_write2_b64 v21, v[53:54], v[90:91] offset1:5
	ds_write_b64 v21, v[47:48] offset:80
	ds_write2_b64 v59, v[74:75], v[80:81] offset1:5
	ds_write_b64 v59, v[49:50] offset:80
	s_waitcnt lgkmcnt(0)
	s_barrier
	buffer_gl0_inv
	global_load_dwordx4 v[47:50], v61, s[8:9] offset:176
	v_lshrrev_b32_e32 v59, 19, v110
	v_mul_u32_u24_sdwa v56, v41, v109 dst_sel:DWORD dst_unused:UNUSED_PAD src0_sel:WORD_0 src1_sel:DWORD
	v_mul_u32_u24_sdwa v69, v42, v109 dst_sel:DWORD dst_unused:UNUSED_PAD src0_sel:WORD_0 src1_sel:DWORD
	;; [unrolled: 1-line block ×3, first 2 shown]
	global_load_dwordx4 v[76:79], v61, s[8:9] offset:160
	v_mul_lo_u16 v21, v59, 15
	v_lshrrev_b32_e32 v100, 19, v56
	v_lshrrev_b32_e32 v102, 19, v69
	v_mul_u32_u24_e32 v59, 0x168, v59
	v_sub_nc_u16 v21, v40, v21
	v_mul_lo_u16 v56, v100, 15
	v_mul_lo_u16 v69, v102, 15
	v_mul_u32_u24_e32 v100, 0x168, v100
	v_mul_u32_u24_e32 v102, 0x168, v102
	v_lshlrev_b32_sdwa v55, v26, v21 dst_sel:DWORD dst_unused:UNUSED_PAD src0_sel:DWORD src1_sel:WORD_0
	v_sub_nc_u16 v101, v41, v56
	v_sub_nc_u16 v103, v42, v69
	global_load_dwordx4 v[51:54], v55, s[8:9] offset:176
	v_lshlrev_b32_sdwa v68, v26, v101 dst_sel:DWORD dst_unused:UNUSED_PAD src0_sel:DWORD src1_sel:WORD_0
	global_load_dwordx4 v[55:58], v55, s[8:9] offset:160
	v_lshlrev_b32_sdwa v80, v26, v103 dst_sel:DWORD dst_unused:UNUSED_PAD src0_sel:DWORD src1_sel:WORD_0
	v_lshrrev_b32_e32 v61, 19, v81
	v_lshlrev_b32_sdwa v101, v27, v101 dst_sel:DWORD dst_unused:UNUSED_PAD src0_sel:DWORD src1_sel:WORD_0
	global_load_dwordx4 v[64:67], v68, s[8:9] offset:160
	v_lshlrev_b32_sdwa v103, v27, v103 dst_sel:DWORD dst_unused:UNUSED_PAD src0_sel:DWORD src1_sel:WORD_0
	s_clause 0x2
	global_load_dwordx4 v[72:75], v80, s[8:9] offset:176
	global_load_dwordx4 v[80:83], v80, s[8:9] offset:160
	;; [unrolled: 1-line block ×3, first 2 shown]
	v_mul_lo_u16 v84, v61, 15
	v_mul_u32_u24_e32 v61, 0x168, v61
	v_add3_u32 v100, 0, v100, v101
	v_add3_u32 v101, 0, v102, v103
	v_mov_b32_e32 v102, 0x2d83
	v_sub_nc_u16 v104, v39, v84
	v_mul_u32_u24_sdwa v103, v40, v102 dst_sel:DWORD dst_unused:UNUSED_PAD src0_sel:WORD_0 src1_sel:DWORD
	v_lshlrev_b32_sdwa v88, v26, v104 dst_sel:DWORD dst_unused:UNUSED_PAD src0_sel:DWORD src1_sel:WORD_0
	s_clause 0x1
	global_load_dwordx4 v[84:87], v88, s[8:9] offset:160
	global_load_dwordx4 v[88:91], v88, s[8:9] offset:176
	ds_read2_b64 v[92:95], v35 offset0:6 offset1:249
	v_lshlrev_b32_sdwa v104, v27, v104 dst_sel:DWORD dst_unused:UNUSED_PAD src0_sel:DWORD src1_sel:WORD_0
	v_add3_u32 v61, 0, v61, v104
	s_waitcnt vmcnt(9) lgkmcnt(0)
	v_mul_f64 v[96:97], v[92:93], v[49:50]
	v_mul_f64 v[49:50], v[22:23], v[49:50]
	s_waitcnt vmcnt(7)
	v_mul_f64 v[98:99], v[94:95], v[53:54]
	v_fma_f64 v[96:97], v[22:23], v[47:48], v[96:97]
	v_mul_f64 v[22:23], v[24:25], v[53:54]
	v_fma_f64 v[92:93], v[92:93], v[47:48], -v[49:50]
	ds_read2_b64 v[47:50], v33 offset0:2 offset1:245
	v_fma_f64 v[53:54], v[24:25], v[51:52], v[98:99]
	s_waitcnt vmcnt(6) lgkmcnt(0)
	v_mul_f64 v[98:99], v[47:48], v[57:58]
	v_mul_f64 v[57:58], v[28:29], v[57:58]
	v_fma_f64 v[51:52], v[94:95], v[51:52], -v[22:23]
	s_waitcnt vmcnt(5)
	v_mul_f64 v[94:95], v[49:50], v[66:67]
	v_mul_f64 v[66:67], v[30:31], v[66:67]
	ds_read2_b64 v[22:25], v37 offset0:4 offset1:247
	v_fma_f64 v[98:99], v[28:29], v[55:56], v[98:99]
	v_fma_f64 v[55:56], v[47:48], v[55:56], -v[57:58]
	s_waitcnt vmcnt(2) lgkmcnt(0)
	v_mul_f64 v[57:58], v[22:23], v[70:71]
	v_mul_f64 v[70:71], v[43:44], v[70:71]
	v_fma_f64 v[94:95], v[30:31], v[64:65], v[94:95]
	v_fma_f64 v[64:65], v[49:50], v[64:65], -v[66:67]
	v_mul_f64 v[66:67], v[24:25], v[74:75]
	v_mul_f64 v[74:75], v[45:46], v[74:75]
	ds_read2_b64 v[28:31], v34 offset0:12 offset1:255
	ds_read2_b64 v[47:50], v38 offset0:8 offset1:251
	v_fma_f64 v[43:44], v[43:44], v[68:69], v[57:58]
	v_fma_f64 v[57:58], v[22:23], v[68:69], -v[70:71]
	v_mul_f64 v[68:69], v[2:3], v[78:79]
	s_waitcnt lgkmcnt(1)
	v_mul_f64 v[22:23], v[30:31], v[78:79]
	v_fma_f64 v[45:46], v[45:46], v[72:73], v[66:67]
	s_waitcnt lgkmcnt(0)
	v_mul_f64 v[70:71], v[47:48], v[82:83]
	v_fma_f64 v[72:73], v[24:25], v[72:73], -v[74:75]
	v_mul_f64 v[24:25], v[12:13], v[82:83]
	ds_read_b64 v[66:67], v32 offset:27216
	s_waitcnt vmcnt(1)
	v_mul_f64 v[74:75], v[49:50], v[86:87]
	v_fma_f64 v[30:31], v[30:31], v[76:77], -v[68:69]
	v_fma_f64 v[78:79], v[2:3], v[76:77], v[22:23]
	v_mul_f64 v[2:3], v[14:15], v[86:87]
	v_fma_f64 v[68:69], v[12:13], v[80:81], v[70:71]
	s_waitcnt vmcnt(0) lgkmcnt(0)
	v_mul_f64 v[82:83], v[66:67], v[90:91]
	v_mul_f64 v[12:13], v[16:17], v[90:91]
	v_fma_f64 v[47:48], v[47:48], v[80:81], -v[24:25]
	v_sub_nc_u16 v22, v60, v105
	v_mul_u32_u24_sdwa v90, v19, v18 dst_sel:DWORD dst_unused:UNUSED_PAD src0_sel:WORD_0 src1_sel:DWORD
	v_lshlrev_b32_sdwa v91, v27, v20 dst_sel:DWORD dst_unused:UNUSED_PAD src0_sel:DWORD src1_sel:BYTE_0
	v_fma_f64 v[18:19], v[14:15], v[84:85], v[74:75]
	v_add_f64 v[74:75], v[98:99], v[53:54]
	v_lshrrev_b16 v86, 1, v22
	v_add_f64 v[80:81], v[55:56], v[51:52]
	ds_read2_b64 v[22:25], v32 offset1:243
	v_add_f64 v[76:77], v[30:31], v[92:93]
	v_add_f64 v[70:71], v[78:79], v[96:97]
	v_fma_f64 v[49:50], v[49:50], v[84:85], -v[2:3]
	v_lshlrev_b32_sdwa v2, v27, v21 dst_sel:DWORD dst_unused:UNUSED_PAD src0_sel:DWORD src1_sel:WORD_0
	v_fma_f64 v[16:17], v[16:17], v[88:89], v[82:83]
	v_and_b32_e32 v3, 0x7f, v86
	v_add_f64 v[20:21], v[94:95], v[43:44]
	v_add_f64 v[82:83], v[68:69], v[45:46]
	v_fma_f64 v[66:67], v[66:67], v[88:89], -v[12:13]
	v_add_f64 v[84:85], v[64:65], v[57:58]
	v_add_f64 v[86:87], v[47:48], v[72:73]
	ds_read2_b64 v[12:15], v36 offset0:6 offset1:249
	v_add_nc_u16 v3, v3, v105
	v_add3_u32 v105, 0, v90, v91
	v_add_f64 v[88:89], v[8:9], v[78:79]
	v_add_f64 v[90:91], v[10:11], v[98:99]
	v_fma_f64 v[10:11], v[74:75], -0.5, v[10:11]
	v_add_f64 v[78:79], v[78:79], -v[96:97]
	v_add_f64 v[98:99], v[98:99], -v[53:54]
	v_add3_u32 v59, 0, v59, v2
	v_lshrrev_b16 v2, 5, v3
	s_waitcnt lgkmcnt(0)
	s_barrier
	v_fma_f64 v[8:9], v[70:71], -0.5, v[8:9]
	v_add_f64 v[70:71], v[22:23], v[30:31]
	v_fma_f64 v[22:23], v[76:77], -0.5, v[22:23]
	v_add_f64 v[74:75], v[18:19], v[16:17]
	;; [unrolled: 2-line block ×3, first 2 shown]
	v_fma_f64 v[4:5], v[20:21], -0.5, v[4:5]
	v_fma_f64 v[20:21], v[82:83], -0.5, v[6:7]
	v_add_f64 v[82:83], v[12:13], v[64:65]
	v_fma_f64 v[12:13], v[84:85], -0.5, v[12:13]
	v_fma_f64 v[84:85], v[86:87], -0.5, v[14:15]
	v_add_f64 v[86:87], v[49:50], v[66:67]
	v_add_f64 v[30:31], v[30:31], -v[92:93]
	v_add_f64 v[64:65], v[64:65], -v[57:58]
	v_add_f64 v[24:25], v[24:25], v[55:56]
	v_add_f64 v[14:15], v[14:15], v[47:48]
	v_add_f64 v[55:56], v[55:56], -v[51:52]
	v_add_f64 v[6:7], v[6:7], v[68:69]
	v_add_f64 v[47:48], v[47:48], -v[72:73]
	v_add_f64 v[94:95], v[94:95], -v[43:44]
	v_add_f64 v[68:69], v[68:69], -v[45:46]
	v_add_f64 v[88:89], v[88:89], v[96:97]
	v_add_f64 v[53:54], v[90:91], v[53:54]
	;; [unrolled: 1-line block ×3, first 2 shown]
	v_mul_lo_u16 v3, v2, 45
	v_fma_f64 v[74:75], v[74:75], -0.5, v[0:1]
	v_add_f64 v[0:1], v[0:1], v[18:19]
	v_add_f64 v[18:19], v[18:19], -v[16:17]
	v_add_f64 v[43:44], v[80:81], v[43:44]
	v_sub_nc_u16 v3, v60, v3
	v_add_f64 v[57:58], v[82:83], v[57:58]
	buffer_gl0_inv
	v_fma_f64 v[86:87], v[86:87], -0.5, v[28:29]
	v_add_f64 v[28:29], v[28:29], v[49:50]
	v_add_f64 v[49:50], v[49:50], -v[66:67]
	v_add_f64 v[51:52], v[24:25], v[51:52]
	v_lshlrev_b32_sdwa v104, v26, v3 dst_sel:DWORD dst_unused:UNUSED_PAD src0_sel:DWORD src1_sel:BYTE_0
	v_fma_f64 v[24:25], v[55:56], s[4:5], v[10:11]
	v_fma_f64 v[10:11], v[55:56], s[6:7], v[10:11]
	v_add_f64 v[55:56], v[14:15], v[72:73]
	v_fma_f64 v[72:73], v[78:79], s[4:5], v[22:23]
	v_add_f64 v[6:7], v[6:7], v[45:46]
	v_fma_f64 v[45:46], v[47:48], s[4:5], v[20:21]
	v_fma_f64 v[20:21], v[47:48], s[6:7], v[20:21]
	v_fma_f64 v[80:81], v[94:95], s[4:5], v[12:13]
	v_fma_f64 v[82:83], v[68:69], s[6:7], v[84:85]
	v_fma_f64 v[68:69], v[68:69], s[4:5], v[84:85]
	v_add_f64 v[0:1], v[0:1], v[16:17]
	v_fma_f64 v[16:17], v[30:31], s[4:5], v[8:9]
	v_fma_f64 v[8:9], v[30:31], s[6:7], v[8:9]
	v_fma_f64 v[30:31], v[64:65], s[4:5], v[4:5]
	v_fma_f64 v[4:5], v[64:65], s[6:7], v[4:5]
	v_fma_f64 v[84:85], v[18:19], s[6:7], v[86:87]
	v_add_f64 v[64:65], v[28:29], v[66:67]
	v_fma_f64 v[66:67], v[78:79], s[6:7], v[22:23]
	v_fma_f64 v[47:48], v[49:50], s[4:5], v[74:75]
	v_fma_f64 v[49:50], v[49:50], s[6:7], v[74:75]
	v_fma_f64 v[74:75], v[98:99], s[6:7], v[76:77]
	v_fma_f64 v[76:77], v[98:99], s[4:5], v[76:77]
	v_fma_f64 v[78:79], v[94:95], s[6:7], v[12:13]
	;; [unrolled: 1-line block ×3, first 2 shown]
	ds_write2_b64 v105, v[88:89], v[16:17] offset1:15
	ds_write_b64 v105, v[8:9] offset:240
	ds_write2_b64 v59, v[53:54], v[24:25] offset1:15
	ds_write_b64 v59, v[10:11] offset:240
	;; [unrolled: 2-line block ×5, first 2 shown]
	s_waitcnt lgkmcnt(0)
	s_barrier
	buffer_gl0_inv
	ds_read2_b64 v[6:9], v32 offset1:243
	ds_read2_b64 v[10:13], v34 offset0:12 offset1:255
	ds_read_b64 v[96:97], v32 offset:27216
	ds_read2_b64 v[14:17], v35 offset0:6 offset1:249
	ds_read2_b64 v[18:21], v33 offset0:2 offset1:245
	;; [unrolled: 1-line block ×5, first 2 shown]
	s_waitcnt lgkmcnt(0)
	s_barrier
	buffer_gl0_inv
	ds_write2_b64 v105, v[70:71], v[66:67] offset1:15
	ds_write_b64 v105, v[72:73] offset:240
	ds_write2_b64 v59, v[51:52], v[74:75] offset1:15
	ds_write_b64 v59, v[76:77] offset:240
	;; [unrolled: 2-line block ×5, first 2 shown]
	s_waitcnt lgkmcnt(0)
	s_barrier
	buffer_gl0_inv
	global_load_dwordx4 v[47:50], v104, s[8:9] offset:656
	v_lshrrev_b32_e32 v0, 19, v103
	v_mul_u32_u24_sdwa v4, v41, v102 dst_sel:DWORD dst_unused:UNUSED_PAD src0_sel:WORD_0 src1_sel:DWORD
	v_mul_u32_u24_sdwa v61, v42, v102 dst_sel:DWORD dst_unused:UNUSED_PAD src0_sel:WORD_0 src1_sel:DWORD
	;; [unrolled: 1-line block ×3, first 2 shown]
	v_mul_lo_u16 v1, v0, 45
	v_lshrrev_b32_e32 v4, 19, v4
	v_lshrrev_b32_e32 v61, 19, v61
	;; [unrolled: 1-line block ×3, first 2 shown]
	v_mul_u32_u24_e32 v0, 0x438, v0
	v_sub_nc_u16 v1, v40, v1
	v_mul_lo_u16 v5, v4, 45
	v_mul_lo_u16 v68, v61, 45
	;; [unrolled: 1-line block ×3, first 2 shown]
	v_lshlrev_b32_sdwa v55, v26, v1 dst_sel:DWORD dst_unused:UNUSED_PAD src0_sel:DWORD src1_sel:WORD_0
	v_sub_nc_u16 v5, v41, v5
	v_sub_nc_u16 v110, v42, v68
	v_lshlrev_b32_sdwa v1, v27, v1 dst_sel:DWORD dst_unused:UNUSED_PAD src0_sel:DWORD src1_sel:WORD_0
	global_load_dwordx4 v[51:54], v55, s[8:9] offset:656
	v_lshlrev_b32_sdwa v59, v26, v5 dst_sel:DWORD dst_unused:UNUSED_PAD src0_sel:DWORD src1_sel:WORD_0
	s_clause 0x3
	global_load_dwordx4 v[55:58], v55, s[8:9] offset:640
	global_load_dwordx4 v[64:67], v59, s[8:9] offset:640
	;; [unrolled: 1-line block ×4, first 2 shown]
	v_lshlrev_b32_sdwa v59, v26, v110 dst_sel:DWORD dst_unused:UNUSED_PAD src0_sel:DWORD src1_sel:WORD_0
	s_clause 0x1
	global_load_dwordx4 v[72:75], v59, s[8:9] offset:656
	global_load_dwordx4 v[80:83], v59, s[8:9] offset:640
	v_sub_nc_u16 v59, v39, v84
	v_lshlrev_b32_sdwa v88, v26, v59 dst_sel:DWORD dst_unused:UNUSED_PAD src0_sel:DWORD src1_sel:WORD_0
	s_clause 0x1
	global_load_dwordx4 v[84:87], v88, s[8:9] offset:640
	global_load_dwordx4 v[88:91], v88, s[8:9] offset:656
	ds_read2_b64 v[92:95], v35 offset0:6 offset1:249
	s_waitcnt vmcnt(9) lgkmcnt(0)
	v_mul_f64 v[98:99], v[92:93], v[49:50]
	v_mul_f64 v[49:50], v[14:15], v[49:50]
	s_waitcnt vmcnt(8)
	v_mul_f64 v[100:101], v[94:95], v[53:54]
	v_fma_f64 v[98:99], v[14:15], v[47:48], v[98:99]
	v_mul_f64 v[14:15], v[16:17], v[53:54]
	v_fma_f64 v[92:93], v[92:93], v[47:48], -v[49:50]
	ds_read2_b64 v[47:50], v33 offset0:2 offset1:245
	v_fma_f64 v[53:54], v[16:17], v[51:52], v[100:101]
	s_waitcnt vmcnt(7) lgkmcnt(0)
	v_mul_f64 v[100:101], v[47:48], v[57:58]
	v_mul_f64 v[57:58], v[18:19], v[57:58]
	v_fma_f64 v[51:52], v[94:95], v[51:52], -v[14:15]
	s_waitcnt vmcnt(6)
	v_mul_f64 v[94:95], v[49:50], v[66:67]
	v_mul_f64 v[66:67], v[20:21], v[66:67]
	ds_read2_b64 v[14:17], v37 offset0:4 offset1:247
	v_fma_f64 v[100:101], v[18:19], v[55:56], v[100:101]
	v_fma_f64 v[55:56], v[47:48], v[55:56], -v[57:58]
	s_waitcnt vmcnt(5) lgkmcnt(0)
	v_mul_f64 v[57:58], v[14:15], v[70:71]
	v_mul_f64 v[70:71], v[28:29], v[70:71]
	v_fma_f64 v[94:95], v[20:21], v[64:65], v[94:95]
	v_fma_f64 v[64:65], v[49:50], v[64:65], -v[66:67]
	s_waitcnt vmcnt(3)
	v_mul_f64 v[66:67], v[16:17], v[74:75]
	ds_read2_b64 v[18:21], v34 offset0:12 offset1:255
	ds_read2_b64 v[47:50], v38 offset0:8 offset1:251
	v_mul_f64 v[74:75], v[30:31], v[74:75]
	v_fma_f64 v[57:58], v[28:29], v[68:69], v[57:58]
	v_fma_f64 v[68:69], v[14:15], v[68:69], -v[70:71]
	v_mul_f64 v[28:29], v[12:13], v[78:79]
	s_waitcnt lgkmcnt(1)
	v_mul_f64 v[14:15], v[20:21], v[78:79]
	v_fma_f64 v[66:67], v[30:31], v[72:73], v[66:67]
	s_waitcnt vmcnt(2) lgkmcnt(0)
	v_mul_f64 v[30:31], v[47:48], v[82:83]
	ds_read_b64 v[70:71], v32 offset:27216
	v_fma_f64 v[16:17], v[16:17], v[72:73], -v[74:75]
	v_mul_f64 v[72:73], v[43:44], v[82:83]
	s_waitcnt vmcnt(1)
	v_mul_f64 v[74:75], v[49:50], v[86:87]
	v_mul_f64 v[82:83], v[45:46], v[86:87]
	v_add_f64 v[86:87], v[94:95], v[57:58]
	v_fma_f64 v[20:21], v[20:21], v[76:77], -v[28:29]
	v_fma_f64 v[78:79], v[12:13], v[76:77], v[14:15]
	s_waitcnt vmcnt(0) lgkmcnt(0)
	v_mul_f64 v[28:29], v[70:71], v[90:91]
	v_fma_f64 v[76:77], v[43:44], v[80:81], v[30:31]
	v_mul_f64 v[43:44], v[96:97], v[90:91]
	ds_read2_b64 v[12:15], v32 offset1:243
	v_fma_f64 v[47:48], v[47:48], v[80:81], -v[72:73]
	v_fma_f64 v[72:73], v[45:46], v[84:85], v[74:75]
	v_fma_f64 v[49:50], v[49:50], v[84:85], -v[82:83]
	v_add_f64 v[82:83], v[55:56], v[51:52]
	v_add_f64 v[74:75], v[100:101], v[53:54]
	;; [unrolled: 1-line block ×4, first 2 shown]
	v_fma_f64 v[84:85], v[96:97], v[88:89], v[28:29]
	v_add_f64 v[90:91], v[76:77], v[66:67]
	v_fma_f64 v[70:71], v[70:71], v[88:89], -v[43:44]
	v_add_f64 v[43:44], v[64:65], v[68:69]
	ds_read2_b64 v[28:31], v36 offset0:6 offset1:249
	s_waitcnt lgkmcnt(1)
	v_add_f64 v[102:103], v[12:13], v[20:21]
	v_add_f64 v[96:97], v[6:7], v[78:79]
	;; [unrolled: 1-line block ×3, first 2 shown]
	v_fma_f64 v[74:75], v[74:75], -0.5, v[8:9]
	v_add_f64 v[8:9], v[8:9], v[100:101]
	s_waitcnt lgkmcnt(0)
	s_barrier
	buffer_gl0_inv
	v_fma_f64 v[12:13], v[80:81], -0.5, v[12:13]
	v_fma_f64 v[80:81], v[82:83], -0.5, v[14:15]
	v_add_f64 v[82:83], v[22:23], v[94:95]
	v_fma_f64 v[22:23], v[86:87], -0.5, v[22:23]
	v_fma_f64 v[86:87], v[90:91], -0.5, v[24:25]
	v_add_f64 v[90:91], v[28:29], v[64:65]
	v_fma_f64 v[104:105], v[43:44], -0.5, v[28:29]
	v_add_f64 v[28:29], v[72:73], v[84:85]
	v_add_nc_u32_e32 v43, 0xffffff79, v60
	v_fma_f64 v[6:7], v[45:46], -0.5, v[6:7]
	v_add_f64 v[14:15], v[14:15], v[55:56]
	v_fma_f64 v[88:89], v[88:89], -0.5, v[30:31]
	v_add_f64 v[30:31], v[30:31], v[47:48]
	v_cndmask_b32_e64 v43, v43, v60, s0
	v_add_f64 v[47:48], v[47:48], -v[16:17]
	v_add_f64 v[94:95], v[94:95], -v[57:58]
	v_add_f64 v[24:25], v[24:25], v[76:77]
	v_add_f64 v[76:77], v[76:77], -v[66:67]
	v_add_f64 v[8:9], v[8:9], v[53:54]
	v_fma_f64 v[106:107], v[28:29], -0.5, v[10:11]
	v_add_f64 v[28:29], v[49:50], v[70:71]
	v_add_f64 v[10:11], v[10:11], v[72:73]
	v_add_f64 v[72:73], v[72:73], -v[84:85]
	v_add_f64 v[14:15], v[14:15], v[51:52]
	v_add_f64 v[30:31], v[30:31], v[16:17]
	;; [unrolled: 1-line block ×3, first 2 shown]
	v_fma_f64 v[108:109], v[28:29], -0.5, v[18:19]
	v_mov_b32_e32 v29, 0
	v_lshlrev_b32_e32 v28, 1, v43
	v_add_f64 v[18:19], v[18:19], v[49:50]
	v_add_f64 v[49:50], v[49:50], -v[70:71]
	v_add_f64 v[10:11], v[10:11], v[84:85]
	v_lshlrev_b64 v[44:45], 4, v[28:29]
	v_add_co_u32 v28, s0, s8, v44
	v_add_co_ci_u32_e64 v112, s0, s9, v45, s0
	v_add3_u32 v45, 0, v0, v1
	v_mul_u32_u24_e32 v0, 0x438, v4
	v_lshlrev_b32_sdwa v1, v27, v5 dst_sel:DWORD dst_unused:UNUSED_PAD src0_sel:DWORD src1_sel:WORD_0
	v_lshlrev_b32_sdwa v5, v27, v59 dst_sel:DWORD dst_unused:UNUSED_PAD src0_sel:DWORD src1_sel:WORD_0
	v_mul_u32_u24_e32 v4, 0x438, v111
	v_add3_u32 v113, 0, v0, v1
	v_mul_u32_u24_e32 v0, 0x438, v61
	v_lshlrev_b32_sdwa v1, v27, v110 dst_sel:DWORD dst_unused:UNUSED_PAD src0_sel:DWORD src1_sel:WORD_0
	v_mov_b32_e32 v110, 0x795d
	v_add3_u32 v61, 0, v4, v5
	v_add_f64 v[4:5], v[78:79], -v[98:99]
	v_fma_f64 v[66:67], v[49:50], s[4:5], v[106:107]
	v_add3_u32 v59, 0, v0, v1
	v_mov_b32_e32 v0, 0x438
	v_mul_u32_u24_sdwa v1, v40, v110 dst_sel:DWORD dst_unused:UNUSED_PAD src0_sel:WORD_0 src1_sel:DWORD
	v_fma_f64 v[49:50], v[49:50], s[6:7], v[106:107]
	v_add_co_u32 v78, s0, 0x820, v28
	v_mul_u32_u24_sdwa v0, v2, v0 dst_sel:DWORD dst_unused:UNUSED_PAD src0_sel:WORD_0 src1_sel:DWORD
	v_lshlrev_b32_sdwa v2, v27, v3 dst_sel:DWORD dst_unused:UNUSED_PAD src0_sel:DWORD src1_sel:BYTE_0
	v_lshrrev_b32_e32 v46, 22, v1
	v_add_co_ci_u32_e64 v79, s0, 0, v112, s0
	v_add3_u32 v111, 0, v0, v2
	v_mul_lo_u16 v0, 0x87, v46
	v_add_f64 v[2:3], v[55:56], -v[51:52]
	v_add_f64 v[55:56], v[96:97], v[98:99]
	v_fma_f64 v[96:97], v[76:77], s[6:7], v[88:89]
	v_fma_f64 v[76:77], v[76:77], s[4:5], v[88:89]
	v_sub_nc_u16 v44, v40, v0
	v_add_f64 v[0:1], v[20:21], -v[92:93]
	v_add_f64 v[20:21], v[64:65], -v[68:69]
	;; [unrolled: 1-line block ×3, first 2 shown]
	v_add_f64 v[92:93], v[102:103], v[92:93]
	v_fma_f64 v[84:85], v[4:5], s[6:7], v[12:13]
	v_fma_f64 v[12:13], v[4:5], s[4:5], v[12:13]
	v_add_f64 v[53:54], v[82:83], v[57:58]
	v_add_f64 v[82:83], v[90:91], v[68:69]
	v_fma_f64 v[90:91], v[94:95], s[6:7], v[104:105]
	v_fma_f64 v[94:95], v[94:95], s[4:5], v[104:105]
	;; [unrolled: 1-line block ×4, first 2 shown]
	v_mul_u32_u24_e32 v46, 0xca8, v46
	v_fma_f64 v[51:52], v[0:1], s[4:5], v[6:7]
	v_fma_f64 v[0:1], v[0:1], s[6:7], v[6:7]
	;; [unrolled: 1-line block ×10, first 2 shown]
	v_add_f64 v[74:75], v[18:19], v[70:71]
	ds_write2_b64 v111, v[55:56], v[51:52] offset1:45
	ds_write_b64 v111, v[0:1] offset:720
	ds_write2_b64 v45, v[8:9], v[6:7] offset1:45
	ds_write_b64 v45, v[2:3] offset:720
	;; [unrolled: 2-line block ×5, first 2 shown]
	s_waitcnt lgkmcnt(0)
	s_barrier
	buffer_gl0_inv
	ds_read2_b64 v[51:54], v32 offset1:243
	ds_read2_b64 v[55:58], v34 offset0:12 offset1:255
	ds_read_b64 v[108:109], v32 offset:27216
	ds_read2_b64 v[0:3], v35 offset0:6 offset1:249
	ds_read2_b64 v[4:7], v33 offset0:2 offset1:245
	;; [unrolled: 1-line block ×5, first 2 shown]
	s_waitcnt lgkmcnt(0)
	s_barrier
	buffer_gl0_inv
	ds_write2_b64 v111, v[92:93], v[84:85] offset1:45
	ds_write_b64 v111, v[12:13] offset:720
	ds_write2_b64 v45, v[14:15], v[86:87] offset1:45
	ds_write_b64 v45, v[80:81] offset:720
	;; [unrolled: 2-line block ×5, first 2 shown]
	s_waitcnt lgkmcnt(0)
	s_barrier
	buffer_gl0_inv
	global_load_dwordx4 v[8:11], v[78:79], off offset:16
	v_lshlrev_b32_sdwa v12, v26, v44 dst_sel:DWORD dst_unused:UNUSED_PAD src0_sel:DWORD src1_sel:WORD_0
	v_mul_u32_u24_sdwa v13, v41, v110 dst_sel:DWORD dst_unused:UNUSED_PAD src0_sel:WORD_0 src1_sel:DWORD
	v_mul_u32_u24_sdwa v50, v39, v110 dst_sel:DWORD dst_unused:UNUSED_PAD src0_sel:WORD_0 src1_sel:DWORD
	ds_read2_b64 v[100:103], v35 offset0:6 offset1:249
	ds_read2_b64 v[104:107], v33 offset0:2 offset1:245
	v_add_co_u32 v20, s0, s8, v12
	v_add_co_ci_u32_e64 v21, null, s9, 0, s0
	v_lshrrev_b32_e32 v30, 22, v13
	v_add_co_u32 v12, s0, 0x820, v20
	v_add_co_ci_u32_e64 v13, s0, 0, v21, s0
	v_mul_lo_u16 v22, 0x87, v30
	v_mul_u32_u24_e32 v30, 0xca8, v30
	global_load_dwordx4 v[12:15], v[12:13], off offset:16
	v_sub_nc_u16 v31, v41, v22
	v_mul_u32_u24_sdwa v22, v42, v110 dst_sel:DWORD dst_unused:UNUSED_PAD src0_sel:WORD_0 src1_sel:DWORD
	v_lshlrev_b32_sdwa v23, v26, v31 dst_sel:DWORD dst_unused:UNUSED_PAD src0_sel:DWORD src1_sel:WORD_0
	v_lshrrev_b32_e32 v45, 22, v22
	v_lshlrev_b32_sdwa v31, v27, v31 dst_sel:DWORD dst_unused:UNUSED_PAD src0_sel:DWORD src1_sel:WORD_0
	v_add_co_u32 v48, s0, s8, v23
	v_add_co_ci_u32_e64 v49, null, s9, 0, s0
	v_add_co_u32 v20, s0, 0x800, v20
	v_add_co_ci_u32_e64 v21, s0, 0, v21, s0
	v_add_co_u32 v24, s0, 0x800, v48
	v_mul_lo_u16 v47, 0x87, v45
	global_load_dwordx4 v[20:23], v[20:21], off offset:32
	v_add_co_ci_u32_e64 v25, s0, 0, v49, s0
	v_mul_u32_u24_e32 v45, 0xca8, v45
	v_sub_nc_u16 v47, v42, v47
	global_load_dwordx4 v[72:75], v[24:25], off offset:32
	v_add_co_u32 v24, s0, 0x820, v48
	v_lshlrev_b32_sdwa v59, v26, v47 dst_sel:DWORD dst_unused:UNUSED_PAD src0_sel:DWORD src1_sel:WORD_0
	v_add_co_ci_u32_e64 v25, s0, 0, v49, s0
	v_lshrrev_b32_e32 v48, 22, v50
	v_add_co_u32 v49, s0, s8, v59
	v_add_co_ci_u32_e64 v59, null, s9, 0, s0
	global_load_dwordx4 v[76:79], v[24:25], off offset:16
	v_add_co_u32 v24, s0, 0x820, v49
	v_add_co_ci_u32_e64 v25, s0, 0, v59, s0
	v_mul_lo_u16 v50, 0x87, v48
	global_load_dwordx4 v[80:83], v[24:25], off offset:16
	v_add_co_u32 v24, s0, 0x800, v28
	v_add_co_ci_u32_e64 v25, s0, 0, v112, s0
	v_sub_nc_u16 v50, v39, v50
	global_load_dwordx4 v[84:87], v[24:25], off offset:32
	v_add_co_u32 v24, s0, 0x800, v49
	v_add_co_ci_u32_e64 v25, s0, 0, v59, s0
	v_lshlrev_b32_sdwa v28, v26, v50 dst_sel:DWORD dst_unused:UNUSED_PAD src0_sel:DWORD src1_sel:WORD_0
	global_load_dwordx4 v[88:91], v[24:25], off offset:32
	v_add_co_u32 v28, s0, s8, v28
	v_add_co_ci_u32_e64 v49, null, s9, 0, s0
	v_add_co_u32 v24, s0, 0x800, v28
	v_add_co_ci_u32_e64 v25, s0, 0, v49, s0
	global_load_dwordx4 v[92:95], v[24:25], off offset:32
	v_add_co_u32 v24, s0, 0x820, v28
	v_add_co_ci_u32_e64 v25, s0, 0, v49, s0
	v_cmp_lt_u32_e64 s0, 0x86, v60
	v_add_nc_u32_e32 v28, 0xffffff5e, v60
	global_load_dwordx4 v[96:99], v[24:25], off offset:16
	v_cndmask_b32_e64 v59, 0, 0xca8, s0
	v_cmp_gt_u32_e64 s0, 0xa2, v60
	v_cndmask_b32_e64 v49, v28, v40, s0
	v_lshlrev_b32_e32 v28, 3, v43
	v_add3_u32 v59, 0, v59, v28
	v_lshlrev_b32_e32 v28, 1, v60
	s_waitcnt vmcnt(9) lgkmcnt(1)
	v_mul_f64 v[24:25], v[100:101], v[10:11]
	v_mul_f64 v[10:11], v[0:1], v[10:11]
	s_waitcnt vmcnt(8)
	v_mul_f64 v[110:111], v[102:103], v[14:15]
	v_fma_f64 v[112:113], v[0:1], v[8:9], v[24:25]
	v_fma_f64 v[0:1], v[100:101], v[8:9], -v[10:11]
	v_mul_f64 v[8:9], v[2:3], v[14:15]
	v_fma_f64 v[110:111], v[2:3], v[12:13], v[110:111]
	s_waitcnt vmcnt(7) lgkmcnt(0)
	v_mul_f64 v[10:11], v[104:105], v[22:23]
	v_mul_f64 v[14:15], v[4:5], v[22:23]
	ds_read2_b64 v[22:25], v37 offset0:4 offset1:247
	v_fma_f64 v[2:3], v[102:103], v[12:13], -v[8:9]
	s_waitcnt vmcnt(6)
	v_mul_f64 v[12:13], v[106:107], v[74:75]
	v_mul_f64 v[74:75], v[6:7], v[74:75]
	ds_read2_b64 v[100:103], v34 offset0:12 offset1:255
	v_fma_f64 v[114:115], v[4:5], v[20:21], v[10:11]
	v_fma_f64 v[8:9], v[104:105], v[20:21], -v[14:15]
	s_waitcnt vmcnt(5) lgkmcnt(1)
	v_mul_f64 v[4:5], v[22:23], v[78:79]
	v_mul_f64 v[14:15], v[16:17], v[78:79]
	s_waitcnt vmcnt(4)
	v_mul_f64 v[20:21], v[24:25], v[82:83]
	v_mul_f64 v[78:79], v[18:19], v[82:83]
	v_fma_f64 v[10:11], v[6:7], v[72:73], v[12:13]
	v_fma_f64 v[12:13], v[106:107], v[72:73], -v[74:75]
	ds_read2_b64 v[72:75], v38 offset0:8 offset1:251
	ds_read_b64 v[82:83], v32 offset:27216
	v_mov_b32_e32 v105, v29
	v_lshlrev_b32_e32 v104, 1, v49
	v_lshlrev_b64 v[104:105], 4, v[104:105]
	v_add_co_u32 v61, s0, s8, v104
	v_fma_f64 v[16:17], v[16:17], v[76:77], v[4:5]
	v_fma_f64 v[6:7], v[22:23], v[76:77], -v[14:15]
	s_waitcnt vmcnt(3) lgkmcnt(2)
	v_mul_f64 v[22:23], v[102:103], v[86:87]
	v_mul_f64 v[76:77], v[57:58], v[86:87]
	v_fma_f64 v[14:15], v[18:19], v[80:81], v[20:21]
	s_waitcnt vmcnt(2) lgkmcnt(1)
	v_mul_f64 v[18:19], v[72:73], v[90:91]
	v_fma_f64 v[4:5], v[24:25], v[80:81], -v[78:79]
	v_mul_f64 v[78:79], v[68:69], v[90:91]
	v_add_f64 v[90:91], v[8:9], v[2:3]
	v_add_co_ci_u32_e64 v104, s0, s9, v105, s0
	s_waitcnt vmcnt(1)
	v_mul_f64 v[80:81], v[74:75], v[94:95]
	v_mul_f64 v[86:87], v[70:71], v[94:95]
	v_lshlrev_b32_sdwa v105, v27, v44 dst_sel:DWORD dst_unused:UNUSED_PAD src0_sel:DWORD src1_sel:WORD_0
	v_add_f64 v[106:107], v[114:115], -v[110:111]
	v_add3_u32 v105, 0, v46, v105
	v_fma_f64 v[57:58], v[57:58], v[84:85], v[22:23]
	v_fma_f64 v[24:25], v[102:103], v[84:85], -v[76:77]
	s_waitcnt vmcnt(0) lgkmcnt(0)
	v_mul_f64 v[76:77], v[82:83], v[98:99]
	v_fma_f64 v[20:21], v[68:69], v[88:89], v[18:19]
	v_mul_f64 v[84:85], v[108:109], v[98:99]
	v_fma_f64 v[22:23], v[72:73], v[88:89], -v[78:79]
	v_fma_f64 v[18:19], v[70:71], v[92:93], v[80:81]
	v_add_f64 v[80:81], v[114:115], v[110:111]
	v_fma_f64 v[86:87], v[74:75], v[92:93], -v[86:87]
	v_add_f64 v[92:93], v[10:11], v[16:17]
	ds_read2_b64 v[68:71], v32 offset1:243
	ds_read2_b64 v[72:75], v36 offset0:6 offset1:249
	s_waitcnt lgkmcnt(0)
	s_barrier
	buffer_gl0_inv
	v_add_f64 v[78:79], v[57:58], v[112:113]
	v_add_f64 v[88:89], v[24:25], v[0:1]
	v_fma_f64 v[76:77], v[108:109], v[96:97], v[76:77]
	v_add_f64 v[94:95], v[20:21], v[14:15]
	v_fma_f64 v[82:83], v[82:83], v[96:97], -v[84:85]
	v_add_f64 v[84:85], v[12:13], v[6:7]
	v_add_f64 v[96:97], v[22:23], v[4:5]
	;; [unrolled: 1-line block ×3, first 2 shown]
	v_lshlrev_b64 v[108:109], 4, v[28:29]
	v_add_f64 v[57:58], v[57:58], -v[112:113]
	v_add_nc_u32_e32 v28, 0xa2, v28
	v_add_co_u32 v43, s0, s8, v108
	v_mov_b32_e32 v108, 0x43a3
	v_add_co_ci_u32_e64 v44, s0, s9, v109, s0
	v_mul_u32_u24_sdwa v46, v42, v108 dst_sel:DWORD dst_unused:UNUSED_PAD src0_sel:WORD_0 src1_sel:DWORD
	v_fma_f64 v[51:52], v[78:79], -0.5, v[51:52]
	v_fma_f64 v[78:79], v[80:81], -0.5, v[53:54]
	v_add_f64 v[80:81], v[68:69], v[24:25]
	v_fma_f64 v[68:69], v[88:89], -0.5, v[68:69]
	v_fma_f64 v[88:89], v[90:91], -0.5, v[70:71]
	v_add_f64 v[90:91], v[64:65], v[10:11]
	;; [unrolled: 3-line block ×4, first 2 shown]
	v_add_f64 v[102:103], v[86:87], v[82:83]
	v_lshrrev_b32_e32 v109, 16, v46
	v_lshlrev_b32_sdwa v46, v27, v47 dst_sel:DWORD dst_unused:UNUSED_PAD src0_sel:DWORD src1_sel:WORD_0
	v_add_f64 v[24:25], v[24:25], -v[0:1]
	v_add_f64 v[70:71], v[70:71], v[8:9]
	v_add_f64 v[53:54], v[53:54], v[114:115]
	v_add_f64 v[8:9], v[8:9], -v[2:3]
	v_add_f64 v[98:99], v[98:99], v[112:113]
	v_mul_u32_u24_e32 v47, 0xca8, v48
	v_add3_u32 v112, 0, v45, v46
	v_lshlrev_b32_sdwa v45, v27, v50 dst_sel:DWORD dst_unused:UNUSED_PAD src0_sel:DWORD src1_sel:WORD_0
	v_add_f64 v[10:11], v[10:11], -v[16:17]
	v_add_f64 v[12:13], v[12:13], -v[6:7]
	v_add_f64 v[66:67], v[66:67], v[20:21]
	v_add_f64 v[74:75], v[74:75], v[22:23]
	v_add_f64 v[22:23], v[22:23], -v[4:5]
	v_add_f64 v[20:21], v[20:21], -v[14:15]
	v_add3_u32 v114, 0, v47, v45
	v_add_f64 v[45:46], v[86:87], -v[82:83]
	v_add_f64 v[16:17], v[90:91], v[16:17]
	v_mul_u32_u24_sdwa v108, v39, v108 dst_sel:DWORD dst_unused:UNUSED_PAD src0_sel:WORD_0 src1_sel:DWORD
	v_fma_f64 v[96:97], v[96:97], -0.5, v[55:56]
	v_add_f64 v[55:56], v[55:56], v[18:19]
	v_fma_f64 v[102:103], v[102:103], -0.5, v[100:101]
	v_add_f64 v[100:101], v[100:101], v[86:87]
	v_add_f64 v[18:19], v[18:19], -v[76:77]
	v_add_f64 v[70:71], v[70:71], v[2:3]
	v_fma_f64 v[2:3], v[24:25], s[6:7], v[51:52]
	v_add_f64 v[53:54], v[53:54], v[110:111]
	v_add3_u32 v110, 0, v30, v31
	v_add_co_u32 v30, s0, 0x1900, v61
	v_add_co_ci_u32_e64 v31, s0, 0, v104, s0
	v_fma_f64 v[86:87], v[10:11], s[6:7], v[72:73]
	v_fma_f64 v[72:73], v[10:11], s[4:5], v[72:73]
	v_add_f64 v[14:15], v[66:67], v[14:15]
	v_add_f64 v[74:75], v[74:75], v[4:5]
	v_add_co_u32 v66, s0, 0x1900, v43
	v_lshrrev_b32_e32 v108, 16, v108
	v_add_co_ci_u32_e64 v67, s0, 0, v44, s0
	v_sub_nc_u16 v111, v42, v109
	v_add_f64 v[47:48], v[55:56], v[76:77]
	v_add_f64 v[55:56], v[80:81], v[0:1]
	v_fma_f64 v[0:1], v[24:25], s[4:5], v[51:52]
	v_fma_f64 v[80:81], v[57:58], s[6:7], v[68:69]
	v_fma_f64 v[57:58], v[57:58], s[4:5], v[68:69]
	v_add_f64 v[76:77], v[94:95], v[6:7]
	v_fma_f64 v[6:7], v[8:9], s[4:5], v[78:79]
	v_fma_f64 v[68:69], v[106:107], s[6:7], v[88:89]
	v_fma_f64 v[8:9], v[8:9], s[6:7], v[78:79]
	v_add_f64 v[78:79], v[100:101], v[82:83]
	v_fma_f64 v[82:83], v[106:107], s[4:5], v[88:89]
	v_fma_f64 v[24:25], v[12:13], s[4:5], v[64:65]
	v_fma_f64 v[12:13], v[12:13], s[6:7], v[64:65]
	v_fma_f64 v[50:51], v[22:23], s[4:5], v[92:93]
	v_fma_f64 v[88:89], v[20:21], s[6:7], v[84:85]
	;; [unrolled: 1-line block ×8, first 2 shown]
	v_sub_nc_u16 v113, v39, v108
	ds_write2_b64 v59, v[98:99], v[0:1] offset1:135
	ds_write_b64 v59, v[2:3] offset:2160
	ds_write2_b64 v105, v[53:54], v[6:7] offset1:135
	ds_write_b64 v105, v[8:9] offset:2160
	;; [unrolled: 2-line block ×5, first 2 shown]
	s_waitcnt lgkmcnt(0)
	s_barrier
	buffer_gl0_inv
	ds_read2_b64 v[0:3], v32 offset1:243
	ds_read2_b64 v[4:7], v34 offset0:12 offset1:255
	ds_read_b64 v[24:25], v32 offset:27216
	ds_read2_b64 v[8:11], v35 offset0:6 offset1:249
	ds_read2_b64 v[12:15], v33 offset0:2 offset1:245
	;; [unrolled: 1-line block ×5, first 2 shown]
	s_waitcnt lgkmcnt(0)
	s_barrier
	buffer_gl0_inv
	ds_write2_b64 v59, v[55:56], v[80:81] offset1:135
	ds_write_b64 v59, v[57:58] offset:2160
	ds_write2_b64 v105, v[70:71], v[68:69] offset1:135
	ds_write_b64 v105, v[82:83] offset:2160
	;; [unrolled: 2-line block ×5, first 2 shown]
	s_waitcnt lgkmcnt(0)
	s_barrier
	buffer_gl0_inv
	s_clause 0x1
	global_load_dwordx4 v[50:53], v[66:67], off offset:16
	global_load_dwordx4 v[54:57], v[30:31], off offset:16
	v_lshrrev_b16 v58, 1, v111
	v_lshrrev_b16 v59, 1, v113
	v_lshlrev_b64 v[30:31], 4, v[28:29]
	v_add_nc_u16 v28, v58, v109
	v_add_co_u32 v58, s0, 0x1800, v61
	v_add_nc_u16 v64, v59, v108
	v_add_co_ci_u32_e64 v59, s0, 0, v104, s0
	v_add_co_u32 v72, s0, s8, v30
	v_lshrrev_b16 v28, 8, v28
	v_add_co_ci_u32_e64 v73, s0, s9, v31, s0
	v_add_co_u32 v30, s0, 0x1800, v72
	v_lshrrev_b16 v61, 8, v64
	v_mul_lo_u16 v68, 0x195, v28
	v_add_co_ci_u32_e64 v31, s0, 0, v73, s0
	global_load_dwordx4 v[64:67], v[58:59], off offset:256
	v_mul_lo_u16 v58, 0x195, v61
	v_sub_nc_u16 v61, v42, v68
	global_load_dwordx4 v[68:71], v[30:31], off offset:256
	v_add_co_u32 v30, s0, 0x1900, v72
	v_add_co_ci_u32_e64 v31, s0, 0, v73, s0
	v_lshlrev_b32_sdwa v26, v26, v61 dst_sel:DWORD dst_unused:UNUSED_PAD src0_sel:DWORD src1_sel:WORD_0
	v_sub_nc_u16 v58, v39, v58
	global_load_dwordx4 v[72:75], v[30:31], off offset:16
	v_add_co_u32 v26, s0, s8, v26
	v_add_co_ci_u32_e64 v84, null, s9, 0, s0
	v_and_b32_e32 v106, 0xffff, v58
	v_add_co_u32 v30, s0, 0x1900, v26
	v_add_co_ci_u32_e64 v31, s0, 0, v84, s0
	v_add_co_u32 v58, s0, 0x1800, v43
	v_add_co_ci_u32_e64 v59, s0, 0, v44, s0
	s_clause 0x1
	global_load_dwordx4 v[76:79], v[30:31], off offset:16
	global_load_dwordx4 v[80:83], v[58:59], off offset:256
	v_lshlrev_b32_e32 v30, 5, v106
	v_add_co_u32 v88, s0, s8, v30
	v_add_co_ci_u32_e64 v89, null, s9, 0, s0
	v_add_co_u32 v30, s0, 0x1800, v26
	v_add_co_ci_u32_e64 v31, s0, 0, v84, s0
	v_add_co_u32 v58, s0, 0x1800, v88
	v_add_co_ci_u32_e64 v59, s0, 0, v89, s0
	global_load_dwordx4 v[84:87], v[30:31], off offset:256
	v_add_co_u32 v30, s0, 0x1900, v88
	v_add_co_ci_u32_e64 v31, s0, 0, v89, s0
	s_clause 0x1
	global_load_dwordx4 v[88:91], v[58:59], off offset:256
	global_load_dwordx4 v[92:95], v[30:31], off offset:16
	ds_read2_b64 v[96:99], v35 offset0:6 offset1:249
	ds_read2_b64 v[100:103], v33 offset0:2 offset1:245
	v_cmp_lt_u32_e64 s0, 0xa1, v60
	s_waitcnt vmcnt(9) lgkmcnt(1)
	v_mul_f64 v[30:31], v[96:97], v[52:53]
	s_waitcnt vmcnt(8)
	v_mul_f64 v[58:59], v[98:99], v[56:57]
	v_mul_f64 v[56:57], v[10:11], v[56:57]
	;; [unrolled: 1-line block ×3, first 2 shown]
	v_fma_f64 v[30:31], v[8:9], v[50:51], v[30:31]
	v_fma_f64 v[58:59], v[10:11], v[54:55], v[58:59]
	s_waitcnt vmcnt(7) lgkmcnt(0)
	v_mul_f64 v[104:105], v[100:101], v[66:67]
	v_mul_f64 v[66:67], v[12:13], v[66:67]
	ds_read2_b64 v[8:11], v37 offset0:4 offset1:247
	v_fma_f64 v[54:55], v[98:99], v[54:55], -v[56:57]
	s_waitcnt vmcnt(6)
	v_mul_f64 v[56:57], v[102:103], v[70:71]
	v_mul_f64 v[70:71], v[14:15], v[70:71]
	v_fma_f64 v[96:97], v[96:97], v[50:51], -v[52:53]
	ds_read2_b64 v[50:53], v34 offset0:12 offset1:255
	v_fma_f64 v[98:99], v[12:13], v[64:65], v[104:105]
	v_fma_f64 v[64:65], v[100:101], v[64:65], -v[66:67]
	s_waitcnt vmcnt(5) lgkmcnt(1)
	v_mul_f64 v[66:67], v[8:9], v[74:75]
	v_mul_f64 v[74:75], v[20:21], v[74:75]
	v_fma_f64 v[56:57], v[14:15], v[68:69], v[56:57]
	ds_read2_b64 v[12:15], v38 offset0:8 offset1:251
	v_fma_f64 v[68:69], v[102:103], v[68:69], -v[70:71]
	s_waitcnt vmcnt(4)
	v_mul_f64 v[70:71], v[10:11], v[78:79]
	s_waitcnt vmcnt(3) lgkmcnt(1)
	v_mul_f64 v[100:101], v[52:53], v[82:83]
	ds_read_b64 v[102:103], v32 offset:27216
	v_mul_f64 v[82:83], v[6:7], v[82:83]
	v_lshl_add_u32 v104, v60, 3, 0
	v_fma_f64 v[20:21], v[20:21], v[72:73], v[66:67]
	v_fma_f64 v[66:67], v[8:9], v[72:73], -v[74:75]
	s_waitcnt vmcnt(2) lgkmcnt(1)
	v_mul_f64 v[72:73], v[12:13], v[86:87]
	v_mul_f64 v[8:9], v[22:23], v[78:79]
	v_fma_f64 v[22:23], v[22:23], v[76:77], v[70:71]
	v_mul_f64 v[70:71], v[45:46], v[86:87]
	s_waitcnt vmcnt(1)
	v_mul_f64 v[74:75], v[14:15], v[90:91]
	v_fma_f64 v[78:79], v[6:7], v[80:81], v[100:101]
	s_waitcnt vmcnt(0) lgkmcnt(0)
	v_mul_f64 v[6:7], v[102:103], v[94:95]
	v_fma_f64 v[52:53], v[52:53], v[80:81], -v[82:83]
	v_mul_f64 v[80:81], v[47:48], v[90:91]
	v_add_f64 v[82:83], v[64:65], v[54:55]
	v_add_f64 v[100:101], v[2:3], v[98:99]
	v_fma_f64 v[45:46], v[45:46], v[84:85], v[72:73]
	v_fma_f64 v[76:77], v[10:11], v[76:77], -v[8:9]
	v_mul_f64 v[10:11], v[24:25], v[94:95]
	v_mov_b32_e32 v8, 0x25f8
	v_fma_f64 v[70:71], v[12:13], v[84:85], -v[70:71]
	v_fma_f64 v[47:48], v[47:48], v[88:89], v[74:75]
	v_cndmask_b32_e64 v12, 0, 0x25f8, s0
	v_fma_f64 v[24:25], v[24:25], v[92:93], v[6:7]
	v_lshlrev_b32_e32 v13, 3, v49
	v_add_f64 v[72:73], v[78:79], v[30:31]
	v_add_f64 v[74:75], v[98:99], v[58:59]
	v_lshlrev_b32_sdwa v49, v27, v61 dst_sel:DWORD dst_unused:UNUSED_PAD src0_sel:DWORD src1_sel:WORD_0
	v_add_f64 v[26:27], v[56:57], v[20:21]
	v_mul_u32_u24_sdwa v28, v28, v8 dst_sel:DWORD dst_unused:UNUSED_PAD src0_sel:WORD_0 src1_sel:DWORD
	ds_read2_b64 v[6:9], v32 offset1:243
	v_fma_f64 v[14:15], v[14:15], v[88:89], -v[80:81]
	v_add_f64 v[88:89], v[68:69], v[66:67]
	v_add3_u32 v61, 0, v12, v13
	v_add_f64 v[80:81], v[52:53], v[96:97]
	v_add_f64 v[94:95], v[0:1], v[78:79]
	v_add_f64 v[78:79], v[78:79], -v[30:31]
	v_add_f64 v[98:99], v[98:99], -v[58:59]
	v_add_f64 v[86:87], v[45:46], v[22:23]
	v_add_f64 v[58:59], v[100:101], v[58:59]
	v_fma_f64 v[84:85], v[102:103], v[92:93], -v[10:11]
	ds_read2_b64 v[10:13], v36 offset0:6 offset1:249
	v_add_f64 v[90:91], v[70:71], v[76:77]
	v_add3_u32 v28, 0, v28, v49
	v_lshl_add_u32 v102, v106, 3, 0
	v_add_f64 v[92:93], v[47:48], v[24:25]
	s_waitcnt lgkmcnt(0)
	v_fma_f64 v[0:1], v[72:73], -0.5, v[0:1]
	v_fma_f64 v[2:3], v[74:75], -0.5, v[2:3]
	s_barrier
	v_add_f64 v[72:73], v[6:7], v[52:53]
	v_add_f64 v[74:75], v[8:9], v[64:65]
	v_fma_f64 v[8:9], v[82:83], -0.5, v[8:9]
	v_add_f64 v[82:83], v[16:17], v[56:57]
	v_fma_f64 v[16:17], v[26:27], -0.5, v[16:17]
	v_add_f64 v[52:53], v[52:53], -v[96:97]
	v_add_f64 v[64:65], v[64:65], -v[54:55]
	v_fma_f64 v[6:7], v[80:81], -0.5, v[6:7]
	v_add_f64 v[56:57], v[56:57], -v[20:21]
	v_add_f64 v[30:31], v[94:95], v[30:31]
	v_fma_f64 v[26:27], v[86:87], -0.5, v[18:19]
	v_add_f64 v[18:19], v[18:19], v[45:46]
	v_add_f64 v[86:87], v[10:11], v[68:69]
	v_fma_f64 v[10:11], v[88:89], -0.5, v[10:11]
	v_fma_f64 v[88:89], v[90:91], -0.5, v[12:13]
	v_add_f64 v[12:13], v[12:13], v[70:71]
	v_add_f64 v[90:91], v[4:5], v[47:48]
	v_add_f64 v[68:69], v[68:69], -v[66:67]
	v_add_f64 v[70:71], v[70:71], -v[76:77]
	v_add_f64 v[80:81], v[14:15], v[84:85]
	v_fma_f64 v[4:5], v[92:93], -0.5, v[4:5]
	v_add_f64 v[92:93], v[50:51], v[14:15]
	v_add_f64 v[14:15], v[14:15], -v[84:85]
	v_add_f64 v[45:46], v[45:46], -v[22:23]
	;; [unrolled: 1-line block ×3, first 2 shown]
	v_add_f64 v[54:55], v[74:75], v[54:55]
	v_add_f64 v[20:21], v[82:83], v[20:21]
	buffer_gl0_inv
	v_add_f64 v[72:73], v[72:73], v[96:97]
	v_add_f64 v[18:19], v[18:19], v[22:23]
	v_fma_f64 v[22:23], v[52:53], s[4:5], v[0:1]
	v_fma_f64 v[0:1], v[52:53], s[6:7], v[0:1]
	;; [unrolled: 1-line block ×3, first 2 shown]
	v_add_f64 v[74:75], v[12:13], v[76:77]
	v_add_f64 v[12:13], v[90:91], v[24:25]
	v_fma_f64 v[24:25], v[64:65], s[4:5], v[2:3]
	v_fma_f64 v[2:3], v[64:65], s[6:7], v[2:3]
	;; [unrolled: 1-line block ×10, first 2 shown]
	v_fma_f64 v[49:50], v[80:81], -0.5, v[50:51]
	v_fma_f64 v[70:71], v[98:99], s[6:7], v[8:9]
	v_fma_f64 v[80:81], v[98:99], s[4:5], v[8:9]
	;; [unrolled: 1-line block ×3, first 2 shown]
	ds_write_b64 v32, v[30:31]
	ds_write_b64 v32, v[22:23] offset:3240
	ds_write_b64 v32, v[0:1] offset:6480
	ds_write_b64 v61, v[58:59]
	ds_write_b64 v61, v[24:25] offset:3240
	ds_write_b64 v61, v[2:3] offset:6480
	;; [unrolled: 1-line block ×5, first 2 shown]
	ds_write_b64 v28, v[18:19]
	ds_write_b64 v28, v[6:7] offset:3240
	ds_write_b64 v28, v[26:27] offset:6480
	;; [unrolled: 1-line block ×5, first 2 shown]
	s_waitcnt lgkmcnt(0)
	s_barrier
	buffer_gl0_inv
	ds_read2_b64 v[0:3], v32 offset1:243
	ds_read2_b64 v[8:11], v34 offset0:12 offset1:255
	ds_read2_b64 v[12:15], v35 offset0:6 offset1:249
	;; [unrolled: 1-line block ×5, first 2 shown]
	ds_read_b64 v[30:31], v32 offset:27216
	ds_read2_b64 v[24:27], v38 offset0:8 offset1:251
	v_add_f64 v[66:67], v[86:87], v[66:67]
	v_add_f64 v[51:52], v[92:93], v[84:85]
	v_fma_f64 v[84:85], v[45:46], s[6:7], v[88:89]
	v_fma_f64 v[45:46], v[45:46], s[4:5], v[88:89]
	s_waitcnt lgkmcnt(0)
	s_barrier
	buffer_gl0_inv
	v_fma_f64 v[86:87], v[47:48], s[6:7], v[49:50]
	v_fma_f64 v[47:48], v[47:48], s[4:5], v[49:50]
	ds_write_b64 v32, v[72:73]
	ds_write_b64 v32, v[64:65] offset:3240
	ds_write_b64 v32, v[68:69] offset:6480
	ds_write_b64 v61, v[54:55]
	ds_write_b64 v61, v[70:71] offset:3240
	ds_write_b64 v61, v[80:81] offset:6480
	;; [unrolled: 1-line block ×5, first 2 shown]
	ds_write_b64 v28, v[74:75]
	ds_write_b64 v28, v[84:85] offset:3240
	ds_write_b64 v28, v[45:46] offset:6480
	;; [unrolled: 1-line block ×5, first 2 shown]
	s_waitcnt lgkmcnt(0)
	s_barrier
	buffer_gl0_inv
	s_and_saveexec_b32 s0, vcc_lo
	s_cbranch_execz .LBB0_13
; %bb.12:
	v_lshlrev_b32_e32 v28, 1, v39
	v_lshlrev_b64 v[45:46], 4, v[28:29]
	v_lshlrev_b32_e32 v28, 1, v42
	v_lshlrev_b64 v[47:48], 4, v[28:29]
	v_add_co_u32 v59, vcc_lo, s8, v45
	v_add_co_ci_u32_e32 v61, vcc_lo, s9, v46, vcc_lo
	v_lshlrev_b32_e32 v28, 1, v41
	v_add_co_u32 v53, vcc_lo, s8, v47
	v_add_co_ci_u32_e32 v54, vcc_lo, s9, v48, vcc_lo
	v_add_co_u32 v41, vcc_lo, 0x4800, v59
	v_add_co_ci_u32_e32 v42, vcc_lo, 0, v61, vcc_lo
	;; [unrolled: 2-line block ×3, first 2 shown]
	global_load_dwordx4 v[45:48], v[41:42], off offset:928
	v_add_co_u32 v53, vcc_lo, 0x4ba0, v53
	v_add_co_ci_u32_e32 v54, vcc_lo, 0, v54, vcc_lo
	s_clause 0x1
	global_load_dwordx4 v[49:52], v[49:50], off offset:928
	global_load_dwordx4 v[53:56], v[53:54], off offset:16
	v_lshlrev_b64 v[41:42], 4, v[28:29]
	v_lshlrev_b32_e32 v28, 1, v40
	v_add_co_u32 v76, vcc_lo, s8, v41
	v_add_co_ci_u32_e32 v77, vcc_lo, s9, v42, vcc_lo
	v_add_co_u32 v41, vcc_lo, 0x4ba0, v76
	v_add_co_ci_u32_e32 v42, vcc_lo, 0, v77, vcc_lo
	global_load_dwordx4 v[64:67], v[41:42], off offset:16
	v_add_co_u32 v41, vcc_lo, 0x4800, v43
	v_add_co_ci_u32_e32 v42, vcc_lo, 0, v44, vcc_lo
	v_add_co_u32 v57, vcc_lo, 0x4ba0, v43
	v_add_co_ci_u32_e32 v58, vcc_lo, 0, v44, vcc_lo
	global_load_dwordx4 v[41:44], v[41:42], off offset:928
	v_add_co_u32 v72, vcc_lo, 0x4ba0, v59
	global_load_dwordx4 v[68:71], v[57:58], off offset:16
	v_lshlrev_b64 v[57:58], 4, v[28:29]
	v_add_co_ci_u32_e32 v73, vcc_lo, 0, v61, vcc_lo
	v_mov_b32_e32 v61, v29
	v_add_co_u32 v28, vcc_lo, s8, v57
	v_add_co_ci_u32_e32 v40, vcc_lo, s9, v58, vcc_lo
	v_add_co_u32 v57, vcc_lo, 0x4800, v76
	v_add_co_ci_u32_e32 v58, vcc_lo, 0, v77, vcc_lo
	global_load_dwordx4 v[72:75], v[72:73], off offset:16
	v_add_co_u32 v80, vcc_lo, 0x4800, v28
	v_add_co_ci_u32_e32 v81, vcc_lo, 0, v40, vcc_lo
	s_clause 0x1
	global_load_dwordx4 v[76:79], v[57:58], off offset:928
	global_load_dwordx4 v[80:83], v[80:81], off offset:928
	v_add_co_u32 v57, vcc_lo, 0x4ba0, v28
	v_add_co_ci_u32_e32 v58, vcc_lo, 0, v40, vcc_lo
	v_add_co_u32 v106, vcc_lo, s2, v62
	v_add_co_ci_u32_e32 v107, vcc_lo, s3, v63, vcc_lo
	global_load_dwordx4 v[84:87], v[57:58], off offset:16
	ds_read2_b64 v[88:91], v38 offset0:8 offset1:251
	ds_read2_b64 v[92:95], v37 offset0:4 offset1:247
	v_lshlrev_b64 v[59:60], 4, v[60:61]
	v_mul_hi_u32 v28, 0x1af83441, v39
	v_lshrrev_b32_e32 v28, 7, v28
	v_mad_u32_u24 v28, 0x97e, v28, v39
	v_lshlrev_b64 v[28:29], 4, v[28:29]
	s_waitcnt vmcnt(9)
	v_mul_f64 v[37:38], v[26:27], v[47:48]
	s_waitcnt lgkmcnt(1)
	v_mul_f64 v[47:48], v[90:91], v[47:48]
	s_waitcnt vmcnt(8)
	v_mul_f64 v[96:97], v[24:25], v[51:52]
	v_mul_f64 v[51:52], v[88:89], v[51:52]
	s_waitcnt vmcnt(7)
	v_mul_f64 v[98:99], v[22:23], v[55:56]
	s_waitcnt lgkmcnt(0)
	v_mul_f64 v[100:101], v[94:95], v[55:56]
	ds_read2_b64 v[55:58], v34 offset0:12 offset1:255
	v_fma_f64 v[37:38], v[45:46], v[90:91], -v[37:38]
	v_fma_f64 v[90:91], v[26:27], v[45:46], v[47:48]
	ds_read2_b64 v[45:48], v35 offset0:6 offset1:249
	s_waitcnt vmcnt(6)
	v_mul_f64 v[102:103], v[20:21], v[66:67]
	v_mul_f64 v[66:67], v[92:93], v[66:67]
	v_fma_f64 v[88:89], v[49:50], v[88:89], -v[96:97]
	ds_read_b64 v[96:97], v32 offset:27216
	v_fma_f64 v[62:63], v[53:54], v[94:95], -v[98:99]
	v_fma_f64 v[22:23], v[22:23], v[53:54], v[100:101]
	v_fma_f64 v[104:105], v[24:25], v[49:50], v[51:52]
	ds_read2_b64 v[24:27], v36 offset0:6 offset1:249
	ds_read2_b64 v[33:36], v33 offset0:2 offset1:245
	ds_read2_b64 v[49:52], v32 offset1:243
	s_waitcnt vmcnt(5)
	v_mul_f64 v[53:54], v[10:11], v[43:44]
	s_waitcnt lgkmcnt(5)
	v_mul_f64 v[43:44], v[57:58], v[43:44]
	s_waitcnt vmcnt(4)
	v_mul_f64 v[94:95], v[12:13], v[70:71]
	s_waitcnt lgkmcnt(4)
	v_mul_f64 v[70:71], v[45:46], v[70:71]
	v_fma_f64 v[92:93], v[64:65], v[92:93], -v[102:103]
	v_fma_f64 v[64:65], v[20:21], v[64:65], v[66:67]
	v_add_co_u32 v66, vcc_lo, v106, v59
	v_add_co_ci_u32_e32 v67, vcc_lo, v107, v60, vcc_lo
	s_waitcnt vmcnt(3) lgkmcnt(3)
	v_mul_f64 v[59:60], v[96:97], v[74:75]
	v_mul_f64 v[20:21], v[30:31], v[74:75]
	v_add_co_u32 v74, vcc_lo, 0x4800, v66
	v_fma_f64 v[53:54], v[41:42], v[57:58], -v[53:54]
	v_fma_f64 v[10:11], v[10:11], v[41:42], v[43:44]
	v_fma_f64 v[40:41], v[68:69], v[45:46], -v[94:95]
	s_waitcnt vmcnt(2) lgkmcnt(1)
	v_mul_f64 v[44:45], v[35:36], v[78:79]
	v_add_co_ci_u32_e32 v75, vcc_lo, 0, v67, vcc_lo
	s_waitcnt vmcnt(1)
	v_mul_f64 v[57:58], v[16:17], v[82:83]
	v_fma_f64 v[42:43], v[12:13], v[68:69], v[70:71]
	v_mul_f64 v[12:13], v[18:19], v[78:79]
	v_add_co_u32 v98, vcc_lo, 0x9000, v66
	v_add_co_ci_u32_e32 v99, vcc_lo, 0, v67, vcc_lo
	v_add_co_u32 v100, vcc_lo, 0x800, v66
	v_add_co_ci_u32_e32 v101, vcc_lo, 0, v67, vcc_lo
	v_add_co_u32 v68, vcc_lo, 0x5800, v66
	v_fma_f64 v[30:31], v[30:31], v[72:73], v[59:60]
	v_mul_f64 v[59:60], v[33:34], v[82:83]
	v_fma_f64 v[20:21], v[72:73], v[96:97], -v[20:21]
	v_add_co_ci_u32_e32 v69, vcc_lo, 0, v67, vcc_lo
	v_add_co_u32 v70, vcc_lo, 0xa000, v66
	v_fma_f64 v[18:19], v[18:19], v[76:77], v[44:45]
	s_waitcnt vmcnt(0)
	v_mul_f64 v[44:45], v[47:48], v[86:87]
	v_add_co_ci_u32_e32 v71, vcc_lo, 0, v67, vcc_lo
	v_fma_f64 v[35:36], v[76:77], v[35:36], -v[12:13]
	v_mul_f64 v[12:13], v[14:15], v[86:87]
	v_add_co_u32 v72, vcc_lo, 0x1800, v66
	v_add_co_ci_u32_e32 v73, vcc_lo, 0, v67, vcc_lo
	v_add_co_u32 v78, vcc_lo, 0x6800, v66
	v_add_co_ci_u32_e32 v79, vcc_lo, 0, v67, vcc_lo
	;; [unrolled: 2-line block ×3, first 2 shown]
	v_fma_f64 v[32:33], v[80:81], v[33:34], -v[57:58]
	s_waitcnt lgkmcnt(0)
	v_add_f64 v[57:58], v[49:50], v[53:54]
	v_fma_f64 v[16:17], v[16:17], v[80:81], v[59:60]
	v_add_co_u32 v80, vcc_lo, 0x2800, v66
	v_add_f64 v[59:60], v[0:1], v[10:11]
	v_add_co_ci_u32_e32 v81, vcc_lo, 0, v67, vcc_lo
	v_add_co_u32 v86, vcc_lo, v106, v28
	v_add_f64 v[82:83], v[37:38], v[20:21]
	v_add_co_ci_u32_e32 v87, vcc_lo, v107, v29, vcc_lo
	v_add_f64 v[28:29], v[53:54], v[40:41]
	v_add_f64 v[96:97], v[10:11], v[42:43]
	v_fma_f64 v[46:47], v[84:85], v[47:48], -v[12:13]
	v_fma_f64 v[44:45], v[14:15], v[84:85], v[44:45]
	v_add_f64 v[102:103], v[90:91], v[30:31]
	v_add_f64 v[14:15], v[88:89], v[62:63]
	;; [unrolled: 1-line block ×3, first 2 shown]
	v_add_f64 v[53:54], v[53:54], -v[40:41]
	v_add_f64 v[108:109], v[104:105], v[22:23]
	v_add_f64 v[94:95], v[10:11], -v[42:43]
	v_add_f64 v[12:13], v[57:58], v[40:41]
	v_add_f64 v[39:40], v[18:19], v[64:65]
	;; [unrolled: 1-line block ×3, first 2 shown]
	v_add_f64 v[57:58], v[90:91], -v[30:31]
	v_add_f64 v[10:11], v[59:60], v[42:43]
	v_add_f64 v[41:42], v[8:9], v[90:91]
	;; [unrolled: 1-line block ×3, first 2 shown]
	v_add_f64 v[59:60], v[104:105], -v[22:23]
	v_add_f64 v[112:113], v[2:3], v[16:17]
	v_fma_f64 v[55:56], v[82:83], -0.5, v[55:56]
	v_add_f64 v[82:83], v[26:27], v[88:89]
	v_add_f64 v[114:115], v[18:19], -v[64:65]
	v_fma_f64 v[28:29], v[28:29], -0.5, v[49:50]
	v_fma_f64 v[48:49], v[96:97], -0.5, v[0:1]
	v_add_f64 v[0:1], v[32:33], v[46:47]
	v_add_f64 v[96:97], v[16:17], v[44:45]
	v_fma_f64 v[8:9], v[102:103], -0.5, v[8:9]
	v_fma_f64 v[102:103], v[14:15], -0.5, v[26:27]
	;; [unrolled: 1-line block ×3, first 2 shown]
	v_add_f64 v[24:25], v[24:25], v[35:36]
	v_add_f64 v[26:27], v[4:5], v[18:19]
	v_fma_f64 v[104:105], v[108:109], -0.5, v[6:7]
	v_add_f64 v[34:35], v[35:36], -v[92:93]
	v_fma_f64 v[108:109], v[39:40], -0.5, v[4:5]
	v_add_f64 v[39:40], v[51:52], v[32:33]
	v_add_f64 v[116:117], v[16:17], -v[44:45]
	v_add_f64 v[118:119], v[32:33], -v[46:47]
	v_add_f64 v[4:5], v[41:42], v[30:31]
	v_add_f64 v[30:31], v[88:89], -v[62:63]
	v_add_f64 v[88:89], v[37:38], -v[20:21]
	v_add_f64 v[14:15], v[90:91], v[22:23]
	v_add_f64 v[6:7], v[106:107], v[20:21]
	;; [unrolled: 1-line block ×3, first 2 shown]
	v_fma_f64 v[32:33], v[57:58], s[4:5], v[55:56]
	v_fma_f64 v[20:21], v[94:95], s[6:7], v[28:29]
	;; [unrolled: 1-line block ×3, first 2 shown]
	v_fma_f64 v[120:121], v[0:1], -0.5, v[51:52]
	v_fma_f64 v[62:63], v[96:97], -0.5, v[2:3]
	v_fma_f64 v[2:3], v[94:95], s[4:5], v[28:29]
	v_fma_f64 v[0:1], v[53:54], s[6:7], v[48:49]
	;; [unrolled: 1-line block ×3, first 2 shown]
	v_add_f64 v[24:25], v[24:25], v[92:93]
	v_add_f64 v[22:23], v[26:27], v[64:65]
	;; [unrolled: 1-line block ×3, first 2 shown]
	v_fma_f64 v[44:45], v[59:60], s[6:7], v[102:103]
	v_fma_f64 v[50:51], v[34:35], s[4:5], v[108:109]
	v_add_f64 v[28:29], v[39:40], v[46:47]
	v_fma_f64 v[40:41], v[59:60], s[4:5], v[102:103]
	v_fma_f64 v[48:49], v[114:115], s[4:5], v[84:85]
	;; [unrolled: 1-line block ×6, first 2 shown]
	v_add_co_u32 v110, vcc_lo, 0x7800, v66
	v_add_co_ci_u32_e32 v111, vcc_lo, 0, v67, vcc_lo
	v_fma_f64 v[34:35], v[88:89], s[4:5], v[8:9]
	v_fma_f64 v[60:61], v[116:117], s[6:7], v[120:121]
	;; [unrolled: 1-line block ×5, first 2 shown]
	v_add_co_u32 v106, vcc_lo, 0xc000, v66
	v_fma_f64 v[30:31], v[88:89], s[6:7], v[8:9]
	v_add_co_ci_u32_e32 v107, vcc_lo, 0, v67, vcc_lo
	v_add_co_u32 v8, vcc_lo, 0x4800, v86
	v_add_co_ci_u32_e32 v9, vcc_lo, 0, v87, vcc_lo
	v_add_co_u32 v62, vcc_lo, 0x9000, v86
	v_add_co_ci_u32_e32 v63, vcc_lo, 0, v87, vcc_lo
	global_store_dwordx4 v[66:67], v[10:13], off
	global_store_dwordx4 v[80:81], v[14:17], off offset:1424
	global_store_dwordx4 v[74:75], v[18:21], off offset:1008
	;; [unrolled: 1-line block ×11, first 2 shown]
	global_store_dwordx4 v[86:87], v[4:7], off
	global_store_dwordx4 v[8:9], v[34:37], off offset:1008
	global_store_dwordx4 v[62:63], v[30:33], off offset:2016
.LBB0_13:
	s_endpgm
	.section	.rodata,"a",@progbits
	.p2align	6, 0x0
	.amdhsa_kernel fft_rtc_back_len3645_factors_5_3_3_3_3_3_3_wgs_243_tpt_243_halfLds_dp_ip_CI_unitstride_sbrr_dirReg
		.amdhsa_group_segment_fixed_size 0
		.amdhsa_private_segment_fixed_size 0
		.amdhsa_kernarg_size 88
		.amdhsa_user_sgpr_count 6
		.amdhsa_user_sgpr_private_segment_buffer 1
		.amdhsa_user_sgpr_dispatch_ptr 0
		.amdhsa_user_sgpr_queue_ptr 0
		.amdhsa_user_sgpr_kernarg_segment_ptr 1
		.amdhsa_user_sgpr_dispatch_id 0
		.amdhsa_user_sgpr_flat_scratch_init 0
		.amdhsa_user_sgpr_private_segment_size 0
		.amdhsa_wavefront_size32 1
		.amdhsa_uses_dynamic_stack 0
		.amdhsa_system_sgpr_private_segment_wavefront_offset 0
		.amdhsa_system_sgpr_workgroup_id_x 1
		.amdhsa_system_sgpr_workgroup_id_y 0
		.amdhsa_system_sgpr_workgroup_id_z 0
		.amdhsa_system_sgpr_workgroup_info 0
		.amdhsa_system_vgpr_workitem_id 0
		.amdhsa_next_free_vgpr 122
		.amdhsa_next_free_sgpr 21
		.amdhsa_reserve_vcc 1
		.amdhsa_reserve_flat_scratch 0
		.amdhsa_float_round_mode_32 0
		.amdhsa_float_round_mode_16_64 0
		.amdhsa_float_denorm_mode_32 3
		.amdhsa_float_denorm_mode_16_64 3
		.amdhsa_dx10_clamp 1
		.amdhsa_ieee_mode 1
		.amdhsa_fp16_overflow 0
		.amdhsa_workgroup_processor_mode 1
		.amdhsa_memory_ordered 1
		.amdhsa_forward_progress 0
		.amdhsa_shared_vgpr_count 0
		.amdhsa_exception_fp_ieee_invalid_op 0
		.amdhsa_exception_fp_denorm_src 0
		.amdhsa_exception_fp_ieee_div_zero 0
		.amdhsa_exception_fp_ieee_overflow 0
		.amdhsa_exception_fp_ieee_underflow 0
		.amdhsa_exception_fp_ieee_inexact 0
		.amdhsa_exception_int_div_zero 0
	.end_amdhsa_kernel
	.text
.Lfunc_end0:
	.size	fft_rtc_back_len3645_factors_5_3_3_3_3_3_3_wgs_243_tpt_243_halfLds_dp_ip_CI_unitstride_sbrr_dirReg, .Lfunc_end0-fft_rtc_back_len3645_factors_5_3_3_3_3_3_3_wgs_243_tpt_243_halfLds_dp_ip_CI_unitstride_sbrr_dirReg
                                        ; -- End function
	.section	.AMDGPU.csdata,"",@progbits
; Kernel info:
; codeLenInByte = 14376
; NumSgprs: 23
; NumVgprs: 122
; ScratchSize: 0
; MemoryBound: 1
; FloatMode: 240
; IeeeMode: 1
; LDSByteSize: 0 bytes/workgroup (compile time only)
; SGPRBlocks: 2
; VGPRBlocks: 15
; NumSGPRsForWavesPerEU: 23
; NumVGPRsForWavesPerEU: 122
; Occupancy: 8
; WaveLimiterHint : 1
; COMPUTE_PGM_RSRC2:SCRATCH_EN: 0
; COMPUTE_PGM_RSRC2:USER_SGPR: 6
; COMPUTE_PGM_RSRC2:TRAP_HANDLER: 0
; COMPUTE_PGM_RSRC2:TGID_X_EN: 1
; COMPUTE_PGM_RSRC2:TGID_Y_EN: 0
; COMPUTE_PGM_RSRC2:TGID_Z_EN: 0
; COMPUTE_PGM_RSRC2:TIDIG_COMP_CNT: 0
	.text
	.p2alignl 6, 3214868480
	.fill 48, 4, 3214868480
	.type	__hip_cuid_7b21a5cefee72c80,@object ; @__hip_cuid_7b21a5cefee72c80
	.section	.bss,"aw",@nobits
	.globl	__hip_cuid_7b21a5cefee72c80
__hip_cuid_7b21a5cefee72c80:
	.byte	0                               ; 0x0
	.size	__hip_cuid_7b21a5cefee72c80, 1

	.ident	"AMD clang version 19.0.0git (https://github.com/RadeonOpenCompute/llvm-project roc-6.4.0 25133 c7fe45cf4b819c5991fe208aaa96edf142730f1d)"
	.section	".note.GNU-stack","",@progbits
	.addrsig
	.addrsig_sym __hip_cuid_7b21a5cefee72c80
	.amdgpu_metadata
---
amdhsa.kernels:
  - .args:
      - .actual_access:  read_only
        .address_space:  global
        .offset:         0
        .size:           8
        .value_kind:     global_buffer
      - .offset:         8
        .size:           8
        .value_kind:     by_value
      - .actual_access:  read_only
        .address_space:  global
        .offset:         16
        .size:           8
        .value_kind:     global_buffer
      - .actual_access:  read_only
        .address_space:  global
        .offset:         24
        .size:           8
        .value_kind:     global_buffer
      - .offset:         32
        .size:           8
        .value_kind:     by_value
      - .actual_access:  read_only
        .address_space:  global
        .offset:         40
        .size:           8
        .value_kind:     global_buffer
      - .actual_access:  read_only
        .address_space:  global
        .offset:         48
        .size:           8
        .value_kind:     global_buffer
      - .offset:         56
        .size:           4
        .value_kind:     by_value
      - .actual_access:  read_only
        .address_space:  global
        .offset:         64
        .size:           8
        .value_kind:     global_buffer
      - .actual_access:  read_only
        .address_space:  global
        .offset:         72
        .size:           8
        .value_kind:     global_buffer
      - .address_space:  global
        .offset:         80
        .size:           8
        .value_kind:     global_buffer
    .group_segment_fixed_size: 0
    .kernarg_segment_align: 8
    .kernarg_segment_size: 88
    .language:       OpenCL C
    .language_version:
      - 2
      - 0
    .max_flat_workgroup_size: 243
    .name:           fft_rtc_back_len3645_factors_5_3_3_3_3_3_3_wgs_243_tpt_243_halfLds_dp_ip_CI_unitstride_sbrr_dirReg
    .private_segment_fixed_size: 0
    .sgpr_count:     23
    .sgpr_spill_count: 0
    .symbol:         fft_rtc_back_len3645_factors_5_3_3_3_3_3_3_wgs_243_tpt_243_halfLds_dp_ip_CI_unitstride_sbrr_dirReg.kd
    .uniform_work_group_size: 1
    .uses_dynamic_stack: false
    .vgpr_count:     122
    .vgpr_spill_count: 0
    .wavefront_size: 32
    .workgroup_processor_mode: 1
amdhsa.target:   amdgcn-amd-amdhsa--gfx1030
amdhsa.version:
  - 1
  - 2
...

	.end_amdgpu_metadata
